;; amdgpu-corpus repo=pytorch/pytorch kind=compiled arch=gfx90a opt=O3
	.text
	.amdgcn_target "amdgcn-amd-amdhsa--gfx90a"
	.amdhsa_code_object_version 6
	.section	.text._ZN2at6native19tril_indices_kernelIiEEvPT_lllll,"axG",@progbits,_ZN2at6native19tril_indices_kernelIiEEvPT_lllll,comdat
	.protected	_ZN2at6native19tril_indices_kernelIiEEvPT_lllll ; -- Begin function _ZN2at6native19tril_indices_kernelIiEEvPT_lllll
	.globl	_ZN2at6native19tril_indices_kernelIiEEvPT_lllll
	.p2align	8
	.type	_ZN2at6native19tril_indices_kernelIiEEvPT_lllll,@function
_ZN2at6native19tril_indices_kernelIiEEvPT_lllll: ; @_ZN2at6native19tril_indices_kernelIiEEvPT_lllll
; %bb.0:
	s_load_dword s7, s[4:5], 0x3c
	s_load_dwordx4 s[0:3], s[4:5], 0x20
	v_mov_b32_e32 v1, 0
	v_mov_b32_e32 v2, s6
	s_waitcnt lgkmcnt(0)
	s_and_b32 s7, s7, 0xffff
	v_mad_u64_u32 v[0:1], s[6:7], s7, v2, v[0:1]
	v_cmp_gt_i64_e32 vcc, s[2:3], v[0:1]
	s_and_saveexec_b64 s[6:7], vcc
	s_cbranch_execz .LBB0_16
; %bb.1:
	s_load_dwordx8 s[4:11], s[4:5], 0x0
	v_cmp_le_i64_e32 vcc, s[0:1], v[0:1]
                                        ; implicit-def: $vgpr4_vgpr5
                                        ; implicit-def: $vgpr2_vgpr3
	s_and_saveexec_b64 s[12:13], vcc
	s_xor_b64 s[12:13], exec, s[12:13]
	s_cbranch_execz .LBB0_7
; %bb.2:
	v_mov_b32_e32 v2, s1
	v_subrev_co_u32_e32 v3, vcc, s0, v0
	v_subb_co_u32_e32 v2, vcc, v1, v2, vcc
	s_waitcnt lgkmcnt(0)
	v_or_b32_e32 v5, s11, v2
	v_mov_b32_e32 v4, 0
	v_cmp_ne_u64_e32 vcc, 0, v[4:5]
                                        ; implicit-def: $vgpr4_vgpr5
	s_and_saveexec_b64 s[0:1], vcc
	s_xor_b64 s[14:15], exec, s[0:1]
	s_cbranch_execz .LBB0_4
; %bb.3:
	s_ashr_i32 s16, s11, 31
	s_add_u32 s0, s10, s16
	s_mov_b32 s17, s16
	s_addc_u32 s1, s11, s16
	s_xor_b64 s[18:19], s[0:1], s[16:17]
	v_cvt_f32_u32_e32 v4, s18
	v_cvt_f32_u32_e32 v5, s19
	s_sub_u32 s0, 0, s18
	s_subb_u32 s1, 0, s19
	v_madmk_f32 v4, v5, 0x4f800000, v4
	v_rcp_f32_e32 v4, v4
	v_mul_f32_e32 v4, 0x5f7ffffc, v4
	v_mul_f32_e32 v5, 0x2f800000, v4
	v_trunc_f32_e32 v5, v5
	v_madmk_f32 v4, v5, 0xcf800000, v4
	v_cvt_u32_f32_e32 v5, v5
	v_cvt_u32_f32_e32 v4, v4
	v_mul_lo_u32 v6, s0, v5
	v_mul_hi_u32 v8, s0, v4
	v_mul_lo_u32 v7, s1, v4
	v_add_u32_e32 v6, v8, v6
	v_mul_lo_u32 v9, s0, v4
	v_add_u32_e32 v6, v6, v7
	v_mul_lo_u32 v8, v4, v6
	v_mul_hi_u32 v10, v4, v9
	v_mul_hi_u32 v7, v4, v6
	v_add_co_u32_e32 v8, vcc, v10, v8
	v_addc_co_u32_e32 v7, vcc, 0, v7, vcc
	v_mul_hi_u32 v11, v5, v9
	v_mul_lo_u32 v9, v5, v9
	v_add_co_u32_e32 v8, vcc, v8, v9
	v_mul_hi_u32 v10, v5, v6
	v_addc_co_u32_e32 v7, vcc, v7, v11, vcc
	v_addc_co_u32_e32 v8, vcc, 0, v10, vcc
	v_mul_lo_u32 v6, v5, v6
	v_add_co_u32_e32 v6, vcc, v7, v6
	v_addc_co_u32_e32 v7, vcc, 0, v8, vcc
	v_add_co_u32_e32 v4, vcc, v4, v6
	v_addc_co_u32_e32 v5, vcc, v5, v7, vcc
	v_mul_lo_u32 v6, s0, v5
	v_mul_hi_u32 v7, s0, v4
	v_add_u32_e32 v6, v7, v6
	v_mul_lo_u32 v7, s1, v4
	v_add_u32_e32 v6, v6, v7
	v_mul_lo_u32 v8, s0, v4
	v_mul_hi_u32 v9, v5, v8
	v_mul_lo_u32 v10, v5, v8
	v_mul_lo_u32 v12, v4, v6
	v_mul_hi_u32 v8, v4, v8
	v_mul_hi_u32 v11, v4, v6
	v_add_co_u32_e32 v8, vcc, v8, v12
	v_addc_co_u32_e32 v11, vcc, 0, v11, vcc
	v_add_co_u32_e32 v8, vcc, v8, v10
	v_mul_hi_u32 v7, v5, v6
	v_addc_co_u32_e32 v8, vcc, v11, v9, vcc
	v_addc_co_u32_e32 v7, vcc, 0, v7, vcc
	v_mul_lo_u32 v6, v5, v6
	v_add_co_u32_e32 v6, vcc, v8, v6
	v_addc_co_u32_e32 v7, vcc, 0, v7, vcc
	v_add_co_u32_e32 v6, vcc, v4, v6
	v_addc_co_u32_e32 v7, vcc, v5, v7, vcc
	v_ashrrev_i32_e32 v8, 31, v2
	v_add_co_u32_e32 v4, vcc, v3, v8
	v_xor_b32_e32 v9, v4, v8
	v_addc_co_u32_e32 v2, vcc, v2, v8, vcc
	v_mad_u64_u32 v[4:5], s[0:1], v9, v7, 0
	v_mul_hi_u32 v10, v9, v6
	v_xor_b32_e32 v2, v2, v8
	v_add_co_u32_e32 v10, vcc, v10, v4
	v_addc_co_u32_e32 v11, vcc, 0, v5, vcc
	v_mad_u64_u32 v[4:5], s[0:1], v2, v7, 0
	v_mad_u64_u32 v[6:7], s[0:1], v2, v6, 0
	v_add_co_u32_e32 v6, vcc, v10, v6
	v_addc_co_u32_e32 v6, vcc, v11, v7, vcc
	v_addc_co_u32_e32 v5, vcc, 0, v5, vcc
	v_add_co_u32_e32 v6, vcc, v6, v4
	v_addc_co_u32_e32 v7, vcc, 0, v5, vcc
	v_mul_lo_u32 v10, s19, v6
	v_mul_lo_u32 v11, s18, v7
	v_mad_u64_u32 v[4:5], s[0:1], s18, v6, 0
	v_add3_u32 v5, v5, v11, v10
	v_sub_u32_e32 v10, v2, v5
	v_mov_b32_e32 v11, s19
	v_sub_co_u32_e32 v4, vcc, v9, v4
	v_subb_co_u32_e64 v9, s[0:1], v10, v11, vcc
	v_subrev_co_u32_e64 v10, s[0:1], s18, v4
	v_subbrev_co_u32_e64 v9, s[0:1], 0, v9, s[0:1]
	v_cmp_le_u32_e64 s[0:1], s19, v9
	v_cndmask_b32_e64 v11, 0, -1, s[0:1]
	v_cmp_le_u32_e64 s[0:1], s18, v10
	v_cndmask_b32_e64 v10, 0, -1, s[0:1]
	v_cmp_eq_u32_e64 s[0:1], s19, v9
	v_cndmask_b32_e64 v9, v11, v10, s[0:1]
	v_add_co_u32_e64 v10, s[0:1], 2, v6
	v_subb_co_u32_e32 v2, vcc, v2, v5, vcc
	v_addc_co_u32_e64 v11, s[0:1], 0, v7, s[0:1]
	v_cmp_le_u32_e32 vcc, s19, v2
	v_add_co_u32_e64 v12, s[0:1], 1, v6
	v_cndmask_b32_e64 v5, 0, -1, vcc
	v_cmp_le_u32_e32 vcc, s18, v4
	v_addc_co_u32_e64 v13, s[0:1], 0, v7, s[0:1]
	v_cndmask_b32_e64 v4, 0, -1, vcc
	v_cmp_eq_u32_e32 vcc, s19, v2
	v_cmp_ne_u32_e64 s[0:1], 0, v9
	v_cndmask_b32_e32 v2, v5, v4, vcc
	v_cmp_ne_u32_e32 vcc, 0, v2
	v_cndmask_b32_e64 v4, v12, v10, s[0:1]
	v_cndmask_b32_e64 v9, v13, v11, s[0:1]
	v_cndmask_b32_e32 v4, v6, v4, vcc
	v_xor_b32_e32 v5, s16, v8
	v_cndmask_b32_e32 v2, v7, v9, vcc
	v_xor_b32_e32 v4, v4, v5
	v_xor_b32_e32 v2, v2, v5
	v_sub_co_u32_e32 v4, vcc, v4, v5
	v_subb_co_u32_e32 v5, vcc, v2, v5, vcc
.LBB0_4:
	s_andn2_saveexec_b64 s[0:1], s[14:15]
	s_cbranch_execz .LBB0_6
; %bb.5:
	v_cvt_f32_u32_e32 v2, s10
	s_sub_i32 s7, 0, s10
	v_rcp_iflag_f32_e32 v2, v2
	v_mul_f32_e32 v2, 0x4f7ffffe, v2
	v_cvt_u32_f32_e32 v2, v2
	v_mul_lo_u32 v4, s7, v2
	v_mul_hi_u32 v4, v2, v4
	v_add_u32_e32 v2, v2, v4
	v_mul_hi_u32 v2, v3, v2
	v_mul_lo_u32 v4, v2, s10
	v_sub_u32_e32 v4, v3, v4
	v_add_u32_e32 v5, 1, v2
	v_subrev_u32_e32 v6, s10, v4
	v_cmp_le_u32_e32 vcc, s10, v4
	v_cndmask_b32_e32 v4, v4, v6, vcc
	v_cndmask_b32_e32 v2, v2, v5, vcc
	v_add_u32_e32 v5, 1, v2
	v_cmp_le_u32_e32 vcc, s10, v4
	v_cndmask_b32_e32 v4, v2, v5, vcc
	v_mov_b32_e32 v5, 0
.LBB0_6:
	s_or_b64 exec, exec, s[0:1]
	s_sub_u32 s0, s10, s8
	s_add_u32 s0, s0, 1
	v_add_co_u32_e32 v2, vcc, s0, v4
	v_mul_lo_u32 v6, v5, s10
	v_mul_lo_u32 v7, v4, s11
	v_mad_u64_u32 v[4:5], s[0:1], v4, s10, 0
	v_sub_co_u32_e32 v4, vcc, v3, v4
	v_add3_u32 v5, v5, v7, v6
.LBB0_7:
	s_andn2_saveexec_b64 s[0:1], s[12:13]
	s_cbranch_execz .LBB0_15
; %bb.8:
	s_waitcnt lgkmcnt(0)
	s_lshl_b64 s[8:9], s[8:9], 1
	s_add_u32 s7, s8, -1
	v_lshlrev_b64 v[2:3], 3, v[0:1]
	s_addc_u32 s14, s9, -1
	v_mad_u64_u32 v[4:5], s[10:11], s7, s7, v[2:3]
	s_mul_i32 s10, s7, s14
	s_add_i32 s10, s10, s10
	v_add_u32_e32 v5, s10, v5
	v_cvt_f64_i32_e32 v[2:3], v5
	v_ldexp_f64 v[2:3], v[2:3], 32
	v_cvt_f64_u32_e32 v[6:7], v4
	s_mov_b32 s10, 0
	v_add_f64 v[2:3], v[2:3], v[6:7]
	s_brev_b32 s11, 8
	v_cmp_gt_f64_e32 vcc, s[10:11], v[2:3]
	v_cndmask_b32_e64 v6, 0, 1, vcc
	v_lshlrev_b32_e32 v6, 8, v6
	v_ldexp_f64 v[2:3], v[2:3], v6
	v_rsq_f64_e32 v[6:7], v[2:3]
	s_sub_u32 s8, 1, s8
	s_subb_u32 s9, 0, s9
	s_movk_i32 s12, 0xffe0
	v_mul_f64 v[10:11], v[2:3], v[6:7]
	v_mul_f64 v[6:7], v[6:7], 0.5
	v_fma_f64 v[8:9], -v[6:7], v[10:11], 0.5
	v_fmac_f64_e32 v[10:11], v[10:11], v[8:9]
	v_fma_f64 v[12:13], -v[10:11], v[10:11], v[2:3]
	v_fmac_f64_e32 v[6:7], v[6:7], v[8:9]
	v_fmac_f64_e32 v[10:11], v[12:13], v[6:7]
	v_fma_f64 v[8:9], -v[10:11], v[10:11], v[2:3]
	v_fmac_f64_e32 v[10:11], v[8:9], v[6:7]
	v_mov_b32_e32 v8, 0xffffff80
	v_cndmask_b32_e32 v6, 0, v8, vcc
	v_mov_b32_e32 v9, 0x260
	v_ldexp_f64 v[6:7], v[10:11], v6
	v_cmp_class_f64_e32 vcc, v[2:3], v9
	v_cndmask_b32_e32 v7, v7, v3, vcc
	v_cndmask_b32_e32 v6, v6, v2, vcc
	v_cvt_f64_i32_e32 v[2:3], s9
	v_ldexp_f64 v[2:3], v[2:3], 32
	v_cvt_f64_u32_e32 v[10:11], s8
	v_add_f64 v[2:3], v[2:3], v[10:11]
	v_add_f64 v[2:3], v[6:7], v[2:3]
	v_mul_f64 v[2:3], v[2:3], 0.5
	v_floor_f64_e32 v[2:3], v[2:3]
	v_ldexp_f64 v[10:11], v[2:3], s12
	v_floor_f64_e32 v[10:11], v[10:11]
	v_fmac_f64_e32 v[2:3], 0xc1f00000, v[10:11]
	v_cvt_u32_f64_e32 v2, v[2:3]
	v_cvt_i32_f64_e32 v3, v[10:11]
	v_mul_f64 v[10:11], v[6:7], v[6:7]
	v_trunc_f64_e32 v[10:11], v[10:11]
	v_ldexp_f64 v[12:13], v[10:11], s12
	v_floor_f64_e32 v[12:13], v[12:13]
	v_fmac_f64_e32 v[10:11], 0xc1f00000, v[12:13]
	v_cvt_u32_f64_e32 v10, v[10:11]
	v_cvt_i32_f64_e32 v11, v[12:13]
	v_cmp_ne_u64_e32 vcc, v[4:5], v[10:11]
	s_and_saveexec_b64 s[8:9], vcc
	s_cbranch_execz .LBB0_14
; %bb.9:
	v_floor_f64_e32 v[6:7], v[6:7]
	v_ldexp_f64 v[10:11], v[6:7], s12
	v_floor_f64_e32 v[10:11], v[10:11]
	v_fmac_f64_e32 v[6:7], 0xc1f00000, v[10:11]
	v_cvt_i32_f64_e32 v12, v[10:11]
	v_cvt_u32_f64_e32 v6, v[6:7]
	v_mul_lo_u32 v10, v6, v12
	v_mad_u64_u32 v[6:7], s[16:17], v6, v6, 0
	v_add3_u32 v7, v7, v10, v10
	v_sub_co_u32_e32 v6, vcc, v4, v6
	v_subb_co_u32_e32 v4, vcc, v5, v7, vcc
	v_cvt_f64_i32_e32 v[4:5], v4
	v_ldexp_f64 v[4:5], v[4:5], 32
	v_cvt_f64_u32_e32 v[6:7], v6
	v_add_f64 v[4:5], v[4:5], v[6:7]
	v_cmp_lt_f64_e64 vcc, |v[4:5]|, s[10:11]
	v_cndmask_b32_e64 v6, 0, 1, vcc
	v_lshlrev_b32_e32 v6, 8, v6
	v_ldexp_f64 v[4:5], |v[4:5]|, v6
	v_rsq_f64_e32 v[6:7], v[4:5]
	v_mul_f64 v[10:11], v[4:5], v[6:7]
	v_mul_f64 v[6:7], v[6:7], 0.5
	v_fma_f64 v[12:13], -v[6:7], v[10:11], 0.5
	v_fmac_f64_e32 v[10:11], v[10:11], v[12:13]
	v_fma_f64 v[14:15], -v[10:11], v[10:11], v[4:5]
	v_fmac_f64_e32 v[6:7], v[6:7], v[12:13]
	v_fmac_f64_e32 v[10:11], v[14:15], v[6:7]
	v_fma_f64 v[12:13], -v[10:11], v[10:11], v[4:5]
	v_fmac_f64_e32 v[10:11], v[12:13], v[6:7]
	v_cndmask_b32_e32 v6, 0, v8, vcc
	v_ldexp_f64 v[6:7], v[10:11], v6
	v_cmp_class_f64_e32 vcc, v[4:5], v9
	v_cndmask_b32_e32 v5, v7, v5, vcc
	v_cndmask_b32_e32 v4, v6, v4, vcc
	v_ceil_f64_e32 v[4:5], v[4:5]
	v_ldexp_f64 v[6:7], v[4:5], s12
	v_floor_f64_e32 v[6:7], v[6:7]
	v_fmac_f64_e32 v[4:5], 0xc1f00000, v[6:7]
	v_cvt_u32_f64_e32 v8, v[4:5]
	v_cvt_i32_f64_e32 v9, v[6:7]
	v_sub_co_u32_e32 v4, vcc, v2, v8
	v_subb_co_u32_e32 v5, vcc, v3, v9, vcc
	v_cmp_gt_i64_e32 vcc, v[2:3], v[8:9]
	v_cndmask_b32_e32 v5, 0, v5, vcc
	v_cndmask_b32_e32 v4, 0, v4, vcc
	v_add_co_u32_e32 v2, vcc, v2, v8
	v_addc_co_u32_e32 v3, vcc, v3, v9, vcc
	v_add_co_u32_e32 v2, vcc, 1, v2
	v_addc_co_u32_e32 v3, vcc, 0, v3, vcc
	;; [unrolled: 2-line block ×3, first 2 shown]
	v_cmp_lt_i64_e32 vcc, v[6:7], v[2:3]
	s_and_saveexec_b64 s[10:11], vcc
	s_cbranch_execz .LBB0_13
; %bb.10:
	v_lshlrev_b64 v[6:7], 1, v[0:1]
	s_mov_b64 s[12:13], 0
	v_mov_b32_e32 v8, s14
.LBB0_11:                               ; =>This Inner Loop Header: Depth=1
	v_add_co_u32_e32 v10, vcc, v4, v2
	v_addc_co_u32_e32 v11, vcc, v5, v3, vcc
	v_ashrrev_i64 v[10:11], 1, v[10:11]
	v_add_co_u32_e32 v9, vcc, s7, v10
	v_addc_co_u32_e32 v12, vcc, v11, v8, vcc
	v_mul_lo_u32 v14, v12, v10
	v_mul_lo_u32 v15, v9, v11
	v_mad_u64_u32 v[12:13], s[16:17], v9, v10, 0
	v_add3_u32 v13, v13, v15, v14
	v_cmp_gt_i64_e32 vcc, v[12:13], v[6:7]
	v_cndmask_b32_e32 v4, v10, v4, vcc
	v_cndmask_b32_e32 v5, v11, v5, vcc
	;; [unrolled: 1-line block ×4, first 2 shown]
	v_add_co_u32_e32 v10, vcc, 1, v4
	v_addc_co_u32_e32 v11, vcc, 0, v5, vcc
	v_cmp_ge_i64_e32 vcc, v[10:11], v[2:3]
	s_or_b64 s[12:13], vcc, s[12:13]
	s_andn2_b64 exec, exec, s[12:13]
	s_cbranch_execnz .LBB0_11
; %bb.12:
	s_or_b64 exec, exec, s[12:13]
.LBB0_13:
	s_or_b64 exec, exec, s[10:11]
	v_pk_mov_b32 v[2:3], v[4:5], v[4:5] op_sel:[0,1]
.LBB0_14:
	s_or_b64 exec, exec, s[8:9]
	v_mov_b32_e32 v4, s14
	v_add_co_u32_e32 v5, vcc, s7, v2
	v_addc_co_u32_e32 v4, vcc, v3, v4, vcc
	v_mul_lo_u32 v6, v4, v2
	v_mul_lo_u32 v3, v5, v3
	v_mad_u64_u32 v[4:5], s[8:9], v5, v2, 0
	v_add3_u32 v5, v5, v3, v6
	v_ashrrev_i64 v[4:5], 1, v[4:5]
	v_sub_co_u32_e32 v4, vcc, v0, v4
.LBB0_15:
	s_or_b64 exec, exec, s[0:1]
	v_lshlrev_b64 v[0:1], 2, v[0:1]
	s_waitcnt lgkmcnt(0)
	v_mov_b32_e32 v3, s5
	v_add_co_u32_e32 v0, vcc, s4, v0
	v_add_u32_e32 v2, s6, v2
	v_addc_co_u32_e32 v1, vcc, v3, v1, vcc
	s_lshl_b64 s[0:1], s[2:3], 2
	global_store_dword v[0:1], v2, off
	v_mov_b32_e32 v2, s1
	v_add_co_u32_e32 v0, vcc, s0, v0
	v_addc_co_u32_e32 v1, vcc, v1, v2, vcc
	global_store_dword v[0:1], v4, off
.LBB0_16:
	s_endpgm
	.section	.rodata,"a",@progbits
	.p2align	6, 0x0
	.amdhsa_kernel _ZN2at6native19tril_indices_kernelIiEEvPT_lllll
		.amdhsa_group_segment_fixed_size 0
		.amdhsa_private_segment_fixed_size 0
		.amdhsa_kernarg_size 304
		.amdhsa_user_sgpr_count 6
		.amdhsa_user_sgpr_private_segment_buffer 1
		.amdhsa_user_sgpr_dispatch_ptr 0
		.amdhsa_user_sgpr_queue_ptr 0
		.amdhsa_user_sgpr_kernarg_segment_ptr 1
		.amdhsa_user_sgpr_dispatch_id 0
		.amdhsa_user_sgpr_flat_scratch_init 0
		.amdhsa_user_sgpr_kernarg_preload_length 0
		.amdhsa_user_sgpr_kernarg_preload_offset 0
		.amdhsa_user_sgpr_private_segment_size 0
		.amdhsa_uses_dynamic_stack 0
		.amdhsa_system_sgpr_private_segment_wavefront_offset 0
		.amdhsa_system_sgpr_workgroup_id_x 1
		.amdhsa_system_sgpr_workgroup_id_y 0
		.amdhsa_system_sgpr_workgroup_id_z 0
		.amdhsa_system_sgpr_workgroup_info 0
		.amdhsa_system_vgpr_workitem_id 0
		.amdhsa_next_free_vgpr 16
		.amdhsa_next_free_sgpr 20
		.amdhsa_accum_offset 16
		.amdhsa_reserve_vcc 1
		.amdhsa_reserve_flat_scratch 0
		.amdhsa_float_round_mode_32 0
		.amdhsa_float_round_mode_16_64 0
		.amdhsa_float_denorm_mode_32 3
		.amdhsa_float_denorm_mode_16_64 3
		.amdhsa_dx10_clamp 1
		.amdhsa_ieee_mode 1
		.amdhsa_fp16_overflow 0
		.amdhsa_tg_split 0
		.amdhsa_exception_fp_ieee_invalid_op 0
		.amdhsa_exception_fp_denorm_src 0
		.amdhsa_exception_fp_ieee_div_zero 0
		.amdhsa_exception_fp_ieee_overflow 0
		.amdhsa_exception_fp_ieee_underflow 0
		.amdhsa_exception_fp_ieee_inexact 0
		.amdhsa_exception_int_div_zero 0
	.end_amdhsa_kernel
	.section	.text._ZN2at6native19tril_indices_kernelIiEEvPT_lllll,"axG",@progbits,_ZN2at6native19tril_indices_kernelIiEEvPT_lllll,comdat
.Lfunc_end0:
	.size	_ZN2at6native19tril_indices_kernelIiEEvPT_lllll, .Lfunc_end0-_ZN2at6native19tril_indices_kernelIiEEvPT_lllll
                                        ; -- End function
	.section	.AMDGPU.csdata,"",@progbits
; Kernel info:
; codeLenInByte = 1848
; NumSgprs: 24
; NumVgprs: 16
; NumAgprs: 0
; TotalNumVgprs: 16
; ScratchSize: 0
; MemoryBound: 0
; FloatMode: 240
; IeeeMode: 1
; LDSByteSize: 0 bytes/workgroup (compile time only)
; SGPRBlocks: 2
; VGPRBlocks: 1
; NumSGPRsForWavesPerEU: 24
; NumVGPRsForWavesPerEU: 16
; AccumOffset: 16
; Occupancy: 8
; WaveLimiterHint : 0
; COMPUTE_PGM_RSRC2:SCRATCH_EN: 0
; COMPUTE_PGM_RSRC2:USER_SGPR: 6
; COMPUTE_PGM_RSRC2:TRAP_HANDLER: 0
; COMPUTE_PGM_RSRC2:TGID_X_EN: 1
; COMPUTE_PGM_RSRC2:TGID_Y_EN: 0
; COMPUTE_PGM_RSRC2:TGID_Z_EN: 0
; COMPUTE_PGM_RSRC2:TIDIG_COMP_CNT: 0
; COMPUTE_PGM_RSRC3_GFX90A:ACCUM_OFFSET: 3
; COMPUTE_PGM_RSRC3_GFX90A:TG_SPLIT: 0
	.section	.text._ZN2at6native19tril_indices_kernelIlEEvPT_lllll,"axG",@progbits,_ZN2at6native19tril_indices_kernelIlEEvPT_lllll,comdat
	.protected	_ZN2at6native19tril_indices_kernelIlEEvPT_lllll ; -- Begin function _ZN2at6native19tril_indices_kernelIlEEvPT_lllll
	.globl	_ZN2at6native19tril_indices_kernelIlEEvPT_lllll
	.p2align	8
	.type	_ZN2at6native19tril_indices_kernelIlEEvPT_lllll,@function
_ZN2at6native19tril_indices_kernelIlEEvPT_lllll: ; @_ZN2at6native19tril_indices_kernelIlEEvPT_lllll
; %bb.0:
	s_load_dword s7, s[4:5], 0x3c
	s_load_dwordx4 s[0:3], s[4:5], 0x20
	v_mov_b32_e32 v1, 0
	v_mov_b32_e32 v2, s6
	s_waitcnt lgkmcnt(0)
	s_and_b32 s7, s7, 0xffff
	v_mad_u64_u32 v[0:1], s[6:7], s7, v2, v[0:1]
	v_cmp_gt_i64_e32 vcc, s[2:3], v[0:1]
	s_and_saveexec_b64 s[6:7], vcc
	s_cbranch_execz .LBB1_16
; %bb.1:
	s_load_dwordx8 s[4:11], s[4:5], 0x0
	v_cmp_le_i64_e32 vcc, s[0:1], v[0:1]
                                        ; implicit-def: $vgpr6_vgpr7
                                        ; implicit-def: $vgpr4_vgpr5
	s_and_saveexec_b64 s[12:13], vcc
	s_xor_b64 s[12:13], exec, s[12:13]
	s_cbranch_execz .LBB1_7
; %bb.2:
	v_mov_b32_e32 v2, s1
	v_subrev_co_u32_e32 v6, vcc, s0, v0
	v_subb_co_u32_e32 v7, vcc, v1, v2, vcc
	s_waitcnt lgkmcnt(0)
	v_or_b32_e32 v3, s11, v7
	v_mov_b32_e32 v2, 0
	v_cmp_ne_u64_e32 vcc, 0, v[2:3]
                                        ; implicit-def: $vgpr2_vgpr3
	s_and_saveexec_b64 s[0:1], vcc
	s_xor_b64 s[14:15], exec, s[0:1]
	s_cbranch_execz .LBB1_4
; %bb.3:
	s_ashr_i32 s16, s11, 31
	s_add_u32 s0, s10, s16
	s_mov_b32 s17, s16
	s_addc_u32 s1, s11, s16
	s_xor_b64 s[18:19], s[0:1], s[16:17]
	v_cvt_f32_u32_e32 v2, s18
	v_cvt_f32_u32_e32 v3, s19
	s_sub_u32 s0, 0, s18
	s_subb_u32 s1, 0, s19
	v_madmk_f32 v2, v3, 0x4f800000, v2
	v_rcp_f32_e32 v2, v2
	v_mul_f32_e32 v2, 0x5f7ffffc, v2
	v_mul_f32_e32 v3, 0x2f800000, v2
	v_trunc_f32_e32 v3, v3
	v_madmk_f32 v2, v3, 0xcf800000, v2
	v_cvt_u32_f32_e32 v3, v3
	v_cvt_u32_f32_e32 v2, v2
	v_mul_lo_u32 v4, s0, v3
	v_mul_hi_u32 v8, s0, v2
	v_mul_lo_u32 v5, s1, v2
	v_add_u32_e32 v4, v8, v4
	v_mul_lo_u32 v9, s0, v2
	v_add_u32_e32 v4, v4, v5
	v_mul_lo_u32 v8, v2, v4
	v_mul_hi_u32 v10, v2, v9
	v_mul_hi_u32 v5, v2, v4
	v_add_co_u32_e32 v8, vcc, v10, v8
	v_addc_co_u32_e32 v5, vcc, 0, v5, vcc
	v_mul_hi_u32 v11, v3, v9
	v_mul_lo_u32 v9, v3, v9
	v_add_co_u32_e32 v8, vcc, v8, v9
	v_mul_hi_u32 v10, v3, v4
	v_addc_co_u32_e32 v5, vcc, v5, v11, vcc
	v_addc_co_u32_e32 v8, vcc, 0, v10, vcc
	v_mul_lo_u32 v4, v3, v4
	v_add_co_u32_e32 v4, vcc, v5, v4
	v_addc_co_u32_e32 v5, vcc, 0, v8, vcc
	v_add_co_u32_e32 v2, vcc, v2, v4
	v_addc_co_u32_e32 v3, vcc, v3, v5, vcc
	v_mul_lo_u32 v4, s0, v3
	v_mul_hi_u32 v5, s0, v2
	v_add_u32_e32 v4, v5, v4
	v_mul_lo_u32 v5, s1, v2
	v_add_u32_e32 v4, v4, v5
	v_mul_lo_u32 v8, s0, v2
	v_mul_hi_u32 v9, v3, v8
	v_mul_lo_u32 v10, v3, v8
	v_mul_lo_u32 v12, v2, v4
	v_mul_hi_u32 v8, v2, v8
	v_mul_hi_u32 v11, v2, v4
	v_add_co_u32_e32 v8, vcc, v8, v12
	v_addc_co_u32_e32 v11, vcc, 0, v11, vcc
	v_add_co_u32_e32 v8, vcc, v8, v10
	v_mul_hi_u32 v5, v3, v4
	v_addc_co_u32_e32 v8, vcc, v11, v9, vcc
	v_addc_co_u32_e32 v5, vcc, 0, v5, vcc
	v_mul_lo_u32 v4, v3, v4
	v_add_co_u32_e32 v4, vcc, v8, v4
	v_addc_co_u32_e32 v5, vcc, 0, v5, vcc
	v_add_co_u32_e32 v4, vcc, v2, v4
	v_addc_co_u32_e32 v5, vcc, v3, v5, vcc
	v_ashrrev_i32_e32 v8, 31, v7
	v_add_co_u32_e32 v2, vcc, v6, v8
	v_addc_co_u32_e32 v3, vcc, v7, v8, vcc
	v_xor_b32_e32 v10, v2, v8
	v_xor_b32_e32 v9, v3, v8
	v_mad_u64_u32 v[2:3], s[0:1], v10, v5, 0
	v_mul_hi_u32 v11, v10, v4
	v_add_co_u32_e32 v11, vcc, v11, v2
	v_addc_co_u32_e32 v12, vcc, 0, v3, vcc
	v_mad_u64_u32 v[2:3], s[0:1], v9, v5, 0
	v_mad_u64_u32 v[4:5], s[0:1], v9, v4, 0
	v_add_co_u32_e32 v4, vcc, v11, v4
	v_addc_co_u32_e32 v4, vcc, v12, v5, vcc
	v_addc_co_u32_e32 v3, vcc, 0, v3, vcc
	v_add_co_u32_e32 v4, vcc, v4, v2
	v_addc_co_u32_e32 v5, vcc, 0, v3, vcc
	v_mul_lo_u32 v11, s19, v4
	v_mul_lo_u32 v12, s18, v5
	v_mad_u64_u32 v[2:3], s[0:1], s18, v4, 0
	v_add3_u32 v3, v3, v12, v11
	v_sub_u32_e32 v11, v9, v3
	v_mov_b32_e32 v12, s19
	v_sub_co_u32_e32 v2, vcc, v10, v2
	v_subb_co_u32_e64 v10, s[0:1], v11, v12, vcc
	v_subrev_co_u32_e64 v11, s[0:1], s18, v2
	v_subbrev_co_u32_e64 v10, s[0:1], 0, v10, s[0:1]
	v_cmp_le_u32_e64 s[0:1], s19, v10
	v_cndmask_b32_e64 v12, 0, -1, s[0:1]
	v_cmp_le_u32_e64 s[0:1], s18, v11
	v_cndmask_b32_e64 v11, 0, -1, s[0:1]
	v_cmp_eq_u32_e64 s[0:1], s19, v10
	v_cndmask_b32_e64 v10, v12, v11, s[0:1]
	v_add_co_u32_e64 v11, s[0:1], 2, v4
	v_subb_co_u32_e32 v3, vcc, v9, v3, vcc
	v_addc_co_u32_e64 v12, s[0:1], 0, v5, s[0:1]
	v_cmp_le_u32_e32 vcc, s19, v3
	v_add_co_u32_e64 v13, s[0:1], 1, v4
	v_cndmask_b32_e64 v9, 0, -1, vcc
	v_cmp_le_u32_e32 vcc, s18, v2
	v_addc_co_u32_e64 v14, s[0:1], 0, v5, s[0:1]
	v_cndmask_b32_e64 v2, 0, -1, vcc
	v_cmp_eq_u32_e32 vcc, s19, v3
	v_cmp_ne_u32_e64 s[0:1], 0, v10
	v_cndmask_b32_e32 v2, v9, v2, vcc
	v_cndmask_b32_e64 v10, v14, v12, s[0:1]
	v_cmp_ne_u32_e32 vcc, 0, v2
	v_cndmask_b32_e64 v3, v13, v11, s[0:1]
	v_cndmask_b32_e32 v2, v5, v10, vcc
	v_cndmask_b32_e32 v3, v4, v3, vcc
	v_xor_b32_e32 v4, s16, v8
	v_xor_b32_e32 v5, v2, v4
	;; [unrolled: 1-line block ×3, first 2 shown]
	v_sub_co_u32_e32 v2, vcc, v2, v4
	v_subb_co_u32_e32 v3, vcc, v5, v4, vcc
.LBB1_4:
	s_andn2_saveexec_b64 s[0:1], s[14:15]
	s_cbranch_execz .LBB1_6
; %bb.5:
	v_cvt_f32_u32_e32 v2, s10
	s_sub_i32 s14, 0, s10
	v_rcp_iflag_f32_e32 v2, v2
	v_mul_f32_e32 v2, 0x4f7ffffe, v2
	v_cvt_u32_f32_e32 v2, v2
	v_mul_lo_u32 v3, s14, v2
	v_mul_hi_u32 v3, v2, v3
	v_add_u32_e32 v2, v2, v3
	v_mul_hi_u32 v2, v6, v2
	v_mul_lo_u32 v3, v2, s10
	v_sub_u32_e32 v3, v6, v3
	v_add_u32_e32 v4, 1, v2
	v_subrev_u32_e32 v5, s10, v3
	v_cmp_le_u32_e32 vcc, s10, v3
	v_cndmask_b32_e32 v3, v3, v5, vcc
	v_cndmask_b32_e32 v2, v2, v4, vcc
	v_add_u32_e32 v4, 1, v2
	v_cmp_le_u32_e32 vcc, s10, v3
	v_cndmask_b32_e32 v2, v2, v4, vcc
	v_mov_b32_e32 v3, 0
.LBB1_6:
	s_or_b64 exec, exec, s[0:1]
	s_sub_u32 s0, s10, s8
	s_subb_u32 s1, s11, s9
	s_add_u32 s0, s0, 1
	s_addc_u32 s1, s1, 0
	v_mov_b32_e32 v5, s1
	v_add_co_u32_e32 v4, vcc, s0, v2
	v_addc_co_u32_e32 v5, vcc, v5, v3, vcc
	v_mul_lo_u32 v8, v3, s10
	v_mul_lo_u32 v9, v2, s11
	v_mad_u64_u32 v[2:3], s[0:1], v2, s10, 0
	v_add3_u32 v3, v3, v9, v8
	v_sub_co_u32_e32 v6, vcc, v6, v2
	v_subb_co_u32_e32 v7, vcc, v7, v3, vcc
.LBB1_7:
	s_or_saveexec_b64 s[0:1], s[12:13]
	v_lshlrev_b64 v[2:3], 3, v[0:1]
	s_xor_b64 exec, exec, s[0:1]
	s_cbranch_execz .LBB1_15
; %bb.8:
	s_waitcnt lgkmcnt(0)
	s_lshl_b64 s[8:9], s[8:9], 1
	s_add_u32 s14, s8, -1
	s_addc_u32 s15, s9, -1
	v_mad_u64_u32 v[6:7], s[10:11], s14, s14, v[2:3]
	s_mul_i32 s10, s14, s15
	s_add_i32 s10, s10, s10
	v_add_u32_e32 v7, s10, v7
	v_cvt_f64_i32_e32 v[4:5], v7
	v_ldexp_f64 v[4:5], v[4:5], 32
	v_cvt_f64_u32_e32 v[8:9], v6
	s_mov_b32 s10, 0
	v_add_f64 v[4:5], v[4:5], v[8:9]
	s_brev_b32 s11, 8
	v_cmp_gt_f64_e32 vcc, s[10:11], v[4:5]
	v_cndmask_b32_e64 v8, 0, 1, vcc
	v_lshlrev_b32_e32 v8, 8, v8
	v_ldexp_f64 v[4:5], v[4:5], v8
	v_rsq_f64_e32 v[8:9], v[4:5]
	s_sub_u32 s8, 1, s8
	s_subb_u32 s9, 0, s9
	s_movk_i32 s12, 0xffe0
	v_mul_f64 v[12:13], v[4:5], v[8:9]
	v_mul_f64 v[8:9], v[8:9], 0.5
	v_fma_f64 v[10:11], -v[8:9], v[12:13], 0.5
	v_fmac_f64_e32 v[12:13], v[12:13], v[10:11]
	v_fma_f64 v[14:15], -v[12:13], v[12:13], v[4:5]
	v_fmac_f64_e32 v[8:9], v[8:9], v[10:11]
	v_fmac_f64_e32 v[12:13], v[14:15], v[8:9]
	v_fma_f64 v[10:11], -v[12:13], v[12:13], v[4:5]
	v_fmac_f64_e32 v[12:13], v[10:11], v[8:9]
	v_mov_b32_e32 v10, 0xffffff80
	v_cndmask_b32_e32 v8, 0, v10, vcc
	v_mov_b32_e32 v11, 0x260
	v_ldexp_f64 v[8:9], v[12:13], v8
	v_cmp_class_f64_e32 vcc, v[4:5], v11
	v_cndmask_b32_e32 v9, v9, v5, vcc
	v_cndmask_b32_e32 v8, v8, v4, vcc
	v_cvt_f64_i32_e32 v[4:5], s9
	v_ldexp_f64 v[4:5], v[4:5], 32
	v_cvt_f64_u32_e32 v[12:13], s8
	v_add_f64 v[4:5], v[4:5], v[12:13]
	v_add_f64 v[4:5], v[8:9], v[4:5]
	v_mul_f64 v[4:5], v[4:5], 0.5
	v_floor_f64_e32 v[4:5], v[4:5]
	v_ldexp_f64 v[12:13], v[4:5], s12
	v_floor_f64_e32 v[12:13], v[12:13]
	v_fmac_f64_e32 v[4:5], 0xc1f00000, v[12:13]
	v_cvt_u32_f64_e32 v4, v[4:5]
	v_cvt_i32_f64_e32 v5, v[12:13]
	v_mul_f64 v[12:13], v[8:9], v[8:9]
	v_trunc_f64_e32 v[12:13], v[12:13]
	v_ldexp_f64 v[14:15], v[12:13], s12
	v_floor_f64_e32 v[14:15], v[14:15]
	v_fmac_f64_e32 v[12:13], 0xc1f00000, v[14:15]
	v_cvt_u32_f64_e32 v12, v[12:13]
	v_cvt_i32_f64_e32 v13, v[14:15]
	v_cmp_ne_u64_e32 vcc, v[6:7], v[12:13]
	s_and_saveexec_b64 s[8:9], vcc
	s_cbranch_execz .LBB1_14
; %bb.9:
	v_floor_f64_e32 v[8:9], v[8:9]
	v_ldexp_f64 v[12:13], v[8:9], s12
	v_floor_f64_e32 v[12:13], v[12:13]
	v_fmac_f64_e32 v[8:9], 0xc1f00000, v[12:13]
	v_cvt_i32_f64_e32 v14, v[12:13]
	v_cvt_u32_f64_e32 v8, v[8:9]
	v_mul_lo_u32 v12, v8, v14
	v_mad_u64_u32 v[8:9], s[16:17], v8, v8, 0
	v_add3_u32 v9, v9, v12, v12
	v_sub_co_u32_e32 v8, vcc, v6, v8
	v_subb_co_u32_e32 v6, vcc, v7, v9, vcc
	v_cvt_f64_i32_e32 v[6:7], v6
	v_ldexp_f64 v[6:7], v[6:7], 32
	v_cvt_f64_u32_e32 v[8:9], v8
	v_add_f64 v[6:7], v[6:7], v[8:9]
	v_cmp_lt_f64_e64 vcc, |v[6:7]|, s[10:11]
	v_cndmask_b32_e64 v8, 0, 1, vcc
	v_lshlrev_b32_e32 v8, 8, v8
	v_ldexp_f64 v[6:7], |v[6:7]|, v8
	v_rsq_f64_e32 v[8:9], v[6:7]
	v_mul_f64 v[12:13], v[6:7], v[8:9]
	v_mul_f64 v[8:9], v[8:9], 0.5
	v_fma_f64 v[14:15], -v[8:9], v[12:13], 0.5
	v_fmac_f64_e32 v[12:13], v[12:13], v[14:15]
	v_fma_f64 v[16:17], -v[12:13], v[12:13], v[6:7]
	v_fmac_f64_e32 v[8:9], v[8:9], v[14:15]
	v_fmac_f64_e32 v[12:13], v[16:17], v[8:9]
	v_fma_f64 v[14:15], -v[12:13], v[12:13], v[6:7]
	v_fmac_f64_e32 v[12:13], v[14:15], v[8:9]
	v_cndmask_b32_e32 v8, 0, v10, vcc
	v_ldexp_f64 v[8:9], v[12:13], v8
	v_cmp_class_f64_e32 vcc, v[6:7], v11
	v_cndmask_b32_e32 v7, v9, v7, vcc
	v_cndmask_b32_e32 v6, v8, v6, vcc
	v_ceil_f64_e32 v[6:7], v[6:7]
	v_ldexp_f64 v[8:9], v[6:7], s12
	v_floor_f64_e32 v[8:9], v[8:9]
	v_fmac_f64_e32 v[6:7], 0xc1f00000, v[8:9]
	v_cvt_u32_f64_e32 v10, v[6:7]
	v_cvt_i32_f64_e32 v11, v[8:9]
	v_sub_co_u32_e32 v6, vcc, v4, v10
	v_subb_co_u32_e32 v7, vcc, v5, v11, vcc
	v_cmp_gt_i64_e32 vcc, v[4:5], v[10:11]
	v_cndmask_b32_e32 v7, 0, v7, vcc
	v_cndmask_b32_e32 v6, 0, v6, vcc
	v_add_co_u32_e32 v4, vcc, v4, v10
	v_addc_co_u32_e32 v5, vcc, v5, v11, vcc
	v_add_co_u32_e32 v4, vcc, 1, v4
	v_addc_co_u32_e32 v5, vcc, 0, v5, vcc
	;; [unrolled: 2-line block ×3, first 2 shown]
	v_cmp_lt_i64_e32 vcc, v[8:9], v[4:5]
	s_and_saveexec_b64 s[10:11], vcc
	s_cbranch_execz .LBB1_13
; %bb.10:
	v_lshlrev_b64 v[8:9], 1, v[0:1]
	s_mov_b64 s[12:13], 0
	v_mov_b32_e32 v10, s15
.LBB1_11:                               ; =>This Inner Loop Header: Depth=1
	v_add_co_u32_e32 v12, vcc, v6, v4
	v_addc_co_u32_e32 v13, vcc, v7, v5, vcc
	v_ashrrev_i64 v[12:13], 1, v[12:13]
	v_add_co_u32_e32 v11, vcc, s14, v12
	v_addc_co_u32_e32 v14, vcc, v13, v10, vcc
	v_mul_lo_u32 v16, v14, v12
	v_mul_lo_u32 v17, v11, v13
	v_mad_u64_u32 v[14:15], s[16:17], v11, v12, 0
	v_add3_u32 v15, v15, v17, v16
	v_cmp_gt_i64_e32 vcc, v[14:15], v[8:9]
	v_cndmask_b32_e32 v6, v12, v6, vcc
	v_cndmask_b32_e32 v7, v13, v7, vcc
	;; [unrolled: 1-line block ×4, first 2 shown]
	v_add_co_u32_e32 v12, vcc, 1, v6
	v_addc_co_u32_e32 v13, vcc, 0, v7, vcc
	v_cmp_ge_i64_e32 vcc, v[12:13], v[4:5]
	s_or_b64 s[12:13], vcc, s[12:13]
	s_andn2_b64 exec, exec, s[12:13]
	s_cbranch_execnz .LBB1_11
; %bb.12:
	s_or_b64 exec, exec, s[12:13]
.LBB1_13:
	s_or_b64 exec, exec, s[10:11]
	v_pk_mov_b32 v[4:5], v[6:7], v[6:7] op_sel:[0,1]
.LBB1_14:
	s_or_b64 exec, exec, s[8:9]
	v_mov_b32_e32 v6, s15
	v_add_co_u32_e32 v7, vcc, s14, v4
	v_addc_co_u32_e32 v6, vcc, v5, v6, vcc
	v_mul_lo_u32 v8, v6, v4
	v_mul_lo_u32 v9, v7, v5
	v_mad_u64_u32 v[6:7], s[8:9], v7, v4, 0
	v_add3_u32 v7, v7, v9, v8
	v_ashrrev_i64 v[6:7], 1, v[6:7]
	v_sub_co_u32_e32 v6, vcc, v0, v6
	v_subb_co_u32_e32 v7, vcc, v1, v7, vcc
.LBB1_15:
	s_or_b64 exec, exec, s[0:1]
	s_waitcnt lgkmcnt(0)
	v_mov_b32_e32 v1, s7
	v_add_co_u32_e32 v0, vcc, s6, v4
	v_addc_co_u32_e32 v1, vcc, v5, v1, vcc
	v_mov_b32_e32 v4, s5
	v_add_co_u32_e32 v2, vcc, s4, v2
	v_addc_co_u32_e32 v3, vcc, v4, v3, vcc
	s_lshl_b64 s[0:1], s[2:3], 3
	global_store_dwordx2 v[2:3], v[0:1], off
	v_mov_b32_e32 v1, s1
	v_add_co_u32_e32 v0, vcc, s0, v2
	v_addc_co_u32_e32 v1, vcc, v3, v1, vcc
	global_store_dwordx2 v[0:1], v[6:7], off
.LBB1_16:
	s_endpgm
	.section	.rodata,"a",@progbits
	.p2align	6, 0x0
	.amdhsa_kernel _ZN2at6native19tril_indices_kernelIlEEvPT_lllll
		.amdhsa_group_segment_fixed_size 0
		.amdhsa_private_segment_fixed_size 0
		.amdhsa_kernarg_size 304
		.amdhsa_user_sgpr_count 6
		.amdhsa_user_sgpr_private_segment_buffer 1
		.amdhsa_user_sgpr_dispatch_ptr 0
		.amdhsa_user_sgpr_queue_ptr 0
		.amdhsa_user_sgpr_kernarg_segment_ptr 1
		.amdhsa_user_sgpr_dispatch_id 0
		.amdhsa_user_sgpr_flat_scratch_init 0
		.amdhsa_user_sgpr_kernarg_preload_length 0
		.amdhsa_user_sgpr_kernarg_preload_offset 0
		.amdhsa_user_sgpr_private_segment_size 0
		.amdhsa_uses_dynamic_stack 0
		.amdhsa_system_sgpr_private_segment_wavefront_offset 0
		.amdhsa_system_sgpr_workgroup_id_x 1
		.amdhsa_system_sgpr_workgroup_id_y 0
		.amdhsa_system_sgpr_workgroup_id_z 0
		.amdhsa_system_sgpr_workgroup_info 0
		.amdhsa_system_vgpr_workitem_id 0
		.amdhsa_next_free_vgpr 18
		.amdhsa_next_free_sgpr 20
		.amdhsa_accum_offset 20
		.amdhsa_reserve_vcc 1
		.amdhsa_reserve_flat_scratch 0
		.amdhsa_float_round_mode_32 0
		.amdhsa_float_round_mode_16_64 0
		.amdhsa_float_denorm_mode_32 3
		.amdhsa_float_denorm_mode_16_64 3
		.amdhsa_dx10_clamp 1
		.amdhsa_ieee_mode 1
		.amdhsa_fp16_overflow 0
		.amdhsa_tg_split 0
		.amdhsa_exception_fp_ieee_invalid_op 0
		.amdhsa_exception_fp_denorm_src 0
		.amdhsa_exception_fp_ieee_div_zero 0
		.amdhsa_exception_fp_ieee_overflow 0
		.amdhsa_exception_fp_ieee_underflow 0
		.amdhsa_exception_fp_ieee_inexact 0
		.amdhsa_exception_int_div_zero 0
	.end_amdhsa_kernel
	.section	.text._ZN2at6native19tril_indices_kernelIlEEvPT_lllll,"axG",@progbits,_ZN2at6native19tril_indices_kernelIlEEvPT_lllll,comdat
.Lfunc_end1:
	.size	_ZN2at6native19tril_indices_kernelIlEEvPT_lllll, .Lfunc_end1-_ZN2at6native19tril_indices_kernelIlEEvPT_lllll
                                        ; -- End function
	.section	.AMDGPU.csdata,"",@progbits
; Kernel info:
; codeLenInByte = 1876
; NumSgprs: 24
; NumVgprs: 18
; NumAgprs: 0
; TotalNumVgprs: 18
; ScratchSize: 0
; MemoryBound: 0
; FloatMode: 240
; IeeeMode: 1
; LDSByteSize: 0 bytes/workgroup (compile time only)
; SGPRBlocks: 2
; VGPRBlocks: 2
; NumSGPRsForWavesPerEU: 24
; NumVGPRsForWavesPerEU: 18
; AccumOffset: 20
; Occupancy: 8
; WaveLimiterHint : 0
; COMPUTE_PGM_RSRC2:SCRATCH_EN: 0
; COMPUTE_PGM_RSRC2:USER_SGPR: 6
; COMPUTE_PGM_RSRC2:TRAP_HANDLER: 0
; COMPUTE_PGM_RSRC2:TGID_X_EN: 1
; COMPUTE_PGM_RSRC2:TGID_Y_EN: 0
; COMPUTE_PGM_RSRC2:TGID_Z_EN: 0
; COMPUTE_PGM_RSRC2:TIDIG_COMP_CNT: 0
; COMPUTE_PGM_RSRC3_GFX90A:ACCUM_OFFSET: 4
; COMPUTE_PGM_RSRC3_GFX90A:TG_SPLIT: 0
	.section	.text._ZN2at6native19triu_indices_kernelIiEEvPT_lllll,"axG",@progbits,_ZN2at6native19triu_indices_kernelIiEEvPT_lllll,comdat
	.protected	_ZN2at6native19triu_indices_kernelIiEEvPT_lllll ; -- Begin function _ZN2at6native19triu_indices_kernelIiEEvPT_lllll
	.globl	_ZN2at6native19triu_indices_kernelIiEEvPT_lllll
	.p2align	8
	.type	_ZN2at6native19triu_indices_kernelIiEEvPT_lllll,@function
_ZN2at6native19triu_indices_kernelIiEEvPT_lllll: ; @_ZN2at6native19triu_indices_kernelIiEEvPT_lllll
; %bb.0:
	s_load_dword s0, s[4:5], 0x3c
	s_load_dwordx4 s[12:15], s[4:5], 0x20
	v_mov_b32_e32 v1, 0
	v_mov_b32_e32 v2, s6
	s_waitcnt lgkmcnt(0)
	s_and_b32 s0, s0, 0xffff
	v_mad_u64_u32 v[0:1], s[0:1], s0, v2, v[0:1]
	v_cmp_gt_i64_e32 vcc, s[14:15], v[0:1]
	s_and_saveexec_b64 s[0:1], vcc
	s_cbranch_execz .LBB2_19
; %bb.1:
	s_load_dwordx8 s[4:11], s[4:5], 0x0
	v_cmp_le_i64_e32 vcc, s[12:13], v[0:1]
                                        ; implicit-def: $vgpr6_vgpr7
                                        ; implicit-def: $vgpr2_vgpr3
	s_and_saveexec_b64 s[0:1], vcc
	s_xor_b64 s[2:3], exec, s[0:1]
	s_cbranch_execz .LBB2_12
; %bb.2:
	s_waitcnt lgkmcnt(0)
	s_lshl_b64 s[8:9], s[8:9], 1
	s_not_b64 s[0:1], s[8:9]
	v_mov_b32_e32 v3, s13
	v_subrev_co_u32_e32 v2, vcc, s12, v0
	s_mul_i32 s1, s0, s1
	s_mul_hi_u32 s7, s0, s0
	v_subb_co_u32_e32 v3, vcc, v1, v3, vcc
	s_add_i32 s7, s7, s1
	v_lshlrev_b64 v[4:5], 3, v[2:3]
	s_add_i32 s1, s7, s1
	s_mul_i32 s0, s0, s0
	v_mov_b32_e32 v7, s1
	v_sub_co_u32_e32 v6, vcc, s0, v4
	v_subb_co_u32_e32 v7, vcc, v7, v5, vcc
	v_cvt_f64_i32_e32 v[4:5], v7
	v_ldexp_f64 v[4:5], v[4:5], 32
	v_cvt_f64_u32_e32 v[8:9], v6
	s_mov_b32 s18, 0
	v_add_f64 v[4:5], v[4:5], v[8:9]
	s_brev_b32 s19, 8
	v_cmp_gt_f64_e32 vcc, s[18:19], v[4:5]
	v_cndmask_b32_e64 v8, 0, 1, vcc
	v_lshlrev_b32_e32 v8, 8, v8
	v_ldexp_f64 v[4:5], v[4:5], v8
	v_rsq_f64_e32 v[8:9], v[4:5]
	s_or_b32 s7, s8, 1
	s_movk_i32 s1, 0xffe0
	s_mov_b32 s0, 0
	v_mul_f64 v[12:13], v[4:5], v[8:9]
	v_mul_f64 v[8:9], v[8:9], 0.5
	v_fma_f64 v[10:11], -v[8:9], v[12:13], 0.5
	v_fmac_f64_e32 v[12:13], v[12:13], v[10:11]
	v_fma_f64 v[14:15], -v[12:13], v[12:13], v[4:5]
	v_fmac_f64_e32 v[8:9], v[8:9], v[10:11]
	v_fmac_f64_e32 v[12:13], v[14:15], v[8:9]
	v_fma_f64 v[10:11], -v[12:13], v[12:13], v[4:5]
	v_fmac_f64_e32 v[12:13], v[10:11], v[8:9]
	v_mov_b32_e32 v10, 0xffffff80
	v_cndmask_b32_e32 v8, 0, v10, vcc
	v_mov_b32_e32 v11, 0x260
	v_ldexp_f64 v[8:9], v[12:13], v8
	v_cmp_class_f64_e32 vcc, v[4:5], v11
	v_cndmask_b32_e32 v9, v9, v5, vcc
	v_cndmask_b32_e32 v8, v8, v4, vcc
	v_cvt_f64_i32_e32 v[4:5], s9
	v_ldexp_f64 v[4:5], v[4:5], 32
	v_cvt_f64_u32_e32 v[12:13], s7
	v_add_f64 v[4:5], v[4:5], v[12:13]
	v_add_f64 v[4:5], v[4:5], -v[8:9]
	v_mul_f64 v[4:5], v[4:5], 0.5
	v_floor_f64_e32 v[4:5], v[4:5]
	v_ldexp_f64 v[12:13], v[4:5], s1
	v_floor_f64_e32 v[12:13], v[12:13]
	v_fmac_f64_e32 v[4:5], 0xc1f00000, v[12:13]
	v_cvt_u32_f64_e32 v4, v[4:5]
	v_cvt_i32_f64_e32 v5, v[12:13]
	v_mul_f64 v[12:13], v[8:9], v[8:9]
	v_trunc_f64_e32 v[12:13], v[12:13]
	v_ldexp_f64 v[14:15], v[12:13], s1
	v_floor_f64_e32 v[14:15], v[14:15]
	v_fmac_f64_e32 v[12:13], 0xc1f00000, v[14:15]
	v_cvt_u32_f64_e32 v12, v[12:13]
	v_cvt_i32_f64_e32 v13, v[14:15]
	v_cmp_ne_u64_e32 vcc, v[6:7], v[12:13]
	s_and_saveexec_b64 s[16:17], vcc
	s_cbranch_execz .LBB2_8
; %bb.3:
	v_floor_f64_e32 v[8:9], v[8:9]
	v_ldexp_f64 v[12:13], v[8:9], s1
	v_floor_f64_e32 v[12:13], v[12:13]
	v_fmac_f64_e32 v[8:9], 0xc1f00000, v[12:13]
	v_cvt_i32_f64_e32 v14, v[12:13]
	v_cvt_u32_f64_e32 v8, v[8:9]
	v_mul_lo_u32 v12, v8, v14
	v_mad_u64_u32 v[8:9], s[20:21], v8, v8, 0
	v_add3_u32 v9, v9, v12, v12
	v_sub_co_u32_e32 v8, vcc, v6, v8
	v_subb_co_u32_e32 v6, vcc, v7, v9, vcc
	v_cvt_f64_i32_e32 v[6:7], v6
	v_ldexp_f64 v[6:7], v[6:7], 32
	v_cvt_f64_u32_e32 v[8:9], v8
	v_add_f64 v[6:7], v[6:7], v[8:9]
	v_cmp_lt_f64_e64 vcc, |v[6:7]|, s[18:19]
	v_cndmask_b32_e64 v8, 0, 1, vcc
	v_lshlrev_b32_e32 v8, 8, v8
	v_ldexp_f64 v[6:7], |v[6:7]|, v8
	v_rsq_f64_e32 v[8:9], v[6:7]
	v_mul_f64 v[12:13], v[6:7], v[8:9]
	v_mul_f64 v[8:9], v[8:9], 0.5
	v_fma_f64 v[14:15], -v[8:9], v[12:13], 0.5
	v_fmac_f64_e32 v[12:13], v[12:13], v[14:15]
	v_fma_f64 v[16:17], -v[12:13], v[12:13], v[6:7]
	v_fmac_f64_e32 v[8:9], v[8:9], v[14:15]
	v_fmac_f64_e32 v[12:13], v[16:17], v[8:9]
	v_fma_f64 v[14:15], -v[12:13], v[12:13], v[6:7]
	v_fmac_f64_e32 v[12:13], v[14:15], v[8:9]
	v_cndmask_b32_e32 v8, 0, v10, vcc
	v_ldexp_f64 v[8:9], v[12:13], v8
	v_cmp_class_f64_e32 vcc, v[6:7], v11
	v_cndmask_b32_e32 v7, v9, v7, vcc
	v_cndmask_b32_e32 v6, v8, v6, vcc
	v_ceil_f64_e32 v[6:7], v[6:7]
	v_ldexp_f64 v[8:9], v[6:7], s1
	v_floor_f64_e32 v[8:9], v[8:9]
	v_fmac_f64_e32 v[6:7], 0xc1f00000, v[8:9]
	v_cvt_u32_f64_e32 v10, v[6:7]
	v_cvt_i32_f64_e32 v11, v[8:9]
	v_sub_co_u32_e32 v6, vcc, v4, v10
	v_subb_co_u32_e32 v7, vcc, v5, v11, vcc
	v_cmp_gt_i64_e32 vcc, v[4:5], v[10:11]
	v_cndmask_b32_e32 v7, 0, v7, vcc
	v_cndmask_b32_e32 v6, 0, v6, vcc
	v_add_co_u32_e32 v4, vcc, v4, v10
	v_addc_co_u32_e32 v5, vcc, v5, v11, vcc
	v_add_co_u32_e32 v4, vcc, 1, v4
	v_addc_co_u32_e32 v5, vcc, 0, v5, vcc
	v_add_co_u32_e32 v8, vcc, 1, v6
	v_addc_co_u32_e32 v9, vcc, 0, v7, vcc
	v_cmp_lt_i64_e32 vcc, v[8:9], v[4:5]
	s_and_saveexec_b64 s[18:19], vcc
	s_cbranch_execz .LBB2_7
; %bb.4:
	v_lshlrev_b64 v[8:9], 1, v[2:3]
	s_mov_b64 s[20:21], 0
	v_mov_b32_e32 v3, s9
.LBB2_5:                                ; =>This Inner Loop Header: Depth=1
	v_add_co_u32_e32 v10, vcc, v6, v4
	v_addc_co_u32_e32 v11, vcc, v7, v5, vcc
	v_ashrrev_i64 v[10:11], 1, v[10:11]
	v_sub_co_u32_e32 v12, vcc, s7, v10
	v_subb_co_u32_e32 v13, vcc, v3, v11, vcc
	v_mul_lo_u32 v14, v13, v10
	v_mul_lo_u32 v15, v12, v11
	v_mad_u64_u32 v[12:13], s[22:23], v12, v10, 0
	v_add3_u32 v13, v13, v15, v14
	v_cmp_gt_i64_e32 vcc, v[12:13], v[8:9]
	v_cndmask_b32_e32 v6, v10, v6, vcc
	v_cndmask_b32_e32 v7, v11, v7, vcc
	;; [unrolled: 1-line block ×4, first 2 shown]
	v_add_co_u32_e32 v10, vcc, 1, v6
	v_addc_co_u32_e32 v11, vcc, 0, v7, vcc
	v_cmp_ge_i64_e32 vcc, v[10:11], v[4:5]
	s_or_b64 s[20:21], vcc, s[20:21]
	s_andn2_b64 exec, exec, s[20:21]
	s_cbranch_execnz .LBB2_5
; %bb.6:
	s_or_b64 exec, exec, s[20:21]
.LBB2_7:
	s_or_b64 exec, exec, s[18:19]
	v_pk_mov_b32 v[4:5], v[6:7], v[6:7] op_sel:[0,1]
.LBB2_8:
	s_or_b64 exec, exec, s[16:17]
	s_or_b64 s[16:17], s[12:13], s[10:11]
	s_mov_b32 s1, s17
	s_cmp_lg_u64 s[0:1], 0
	s_cbranch_scc0 .LBB2_20
; %bb.9:
	s_ashr_i32 s18, s11, 31
	s_add_u32 s0, s10, s18
	s_mov_b32 s19, s18
	s_addc_u32 s1, s11, s18
	s_xor_b64 s[20:21], s[0:1], s[18:19]
	v_cvt_f32_u32_e32 v3, s20
	v_cvt_f32_u32_e32 v6, s21
	s_sub_u32 s0, 0, s20
	s_subb_u32 s1, 0, s21
	v_madmk_f32 v3, v6, 0x4f800000, v3
	v_rcp_f32_e32 v3, v3
	v_mul_f32_e32 v3, 0x5f7ffffc, v3
	v_mul_f32_e32 v6, 0x2f800000, v3
	v_trunc_f32_e32 v6, v6
	v_madmk_f32 v3, v6, 0xcf800000, v3
	v_cvt_u32_f32_e32 v6, v6
	v_cvt_u32_f32_e32 v3, v3
	v_readfirstlane_b32 s8, v6
	v_readfirstlane_b32 s22, v3
	s_mul_i32 s23, s0, s8
	s_mul_hi_u32 s25, s0, s22
	s_mul_i32 s24, s1, s22
	s_add_i32 s23, s25, s23
	s_add_i32 s23, s23, s24
	s_mul_i32 s26, s0, s22
	s_mul_hi_u32 s24, s22, s23
	s_mul_i32 s25, s22, s23
	s_mul_hi_u32 s22, s22, s26
	s_add_u32 s22, s22, s25
	s_addc_u32 s24, 0, s24
	s_mul_hi_u32 s27, s8, s26
	s_mul_i32 s26, s8, s26
	s_add_u32 s22, s22, s26
	s_mul_hi_u32 s25, s8, s23
	s_addc_u32 s22, s24, s27
	s_addc_u32 s24, s25, 0
	s_mul_i32 s23, s8, s23
	s_add_u32 s22, s22, s23
	s_addc_u32 s23, 0, s24
	v_add_co_u32_e32 v3, vcc, s22, v3
	s_cmp_lg_u64 vcc, 0
	s_addc_u32 s8, s8, s23
	v_readfirstlane_b32 s23, v3
	s_mul_i32 s22, s0, s8
	s_mul_hi_u32 s24, s0, s23
	s_add_i32 s22, s24, s22
	s_mul_i32 s1, s1, s23
	s_add_i32 s22, s22, s1
	s_mul_i32 s0, s0, s23
	s_mul_hi_u32 s24, s8, s0
	s_mul_i32 s25, s8, s0
	s_mul_i32 s27, s23, s22
	s_mul_hi_u32 s0, s23, s0
	s_mul_hi_u32 s26, s23, s22
	s_add_u32 s0, s0, s27
	s_addc_u32 s23, 0, s26
	s_add_u32 s0, s0, s25
	s_mul_hi_u32 s1, s8, s22
	s_addc_u32 s0, s23, s24
	s_addc_u32 s1, s1, 0
	s_mul_i32 s22, s8, s22
	s_add_u32 s0, s0, s22
	s_addc_u32 s1, 0, s1
	v_add_co_u32_e32 v3, vcc, s0, v3
	s_cmp_lg_u64 vcc, 0
	s_addc_u32 s8, s8, s1
	s_ashr_i32 s22, s13, 31
	s_add_u32 s0, s12, s22
	s_mov_b32 s23, s22
	s_addc_u32 s1, s13, s22
	s_xor_b64 s[24:25], s[0:1], s[22:23]
	v_readfirstlane_b32 s13, v3
	s_mul_i32 s1, s24, s8
	s_mul_hi_u32 s26, s24, s13
	s_mul_hi_u32 s0, s24, s8
	s_add_u32 s1, s26, s1
	s_addc_u32 s0, 0, s0
	s_mul_hi_u32 s27, s25, s13
	s_mul_i32 s13, s25, s13
	s_add_u32 s1, s1, s13
	s_mul_hi_u32 s26, s25, s8
	s_addc_u32 s0, s0, s27
	s_addc_u32 s1, s26, 0
	s_mul_i32 s8, s25, s8
	s_add_u32 s8, s0, s8
	s_addc_u32 s13, 0, s1
	s_mul_i32 s0, s20, s13
	s_mul_hi_u32 s1, s20, s8
	s_add_i32 s0, s1, s0
	s_mul_i32 s1, s21, s8
	s_add_i32 s26, s0, s1
	s_mul_i32 s1, s20, s8
	v_mov_b32_e32 v3, s1
	s_sub_i32 s0, s25, s26
	v_sub_co_u32_e32 v3, vcc, s24, v3
	s_cmp_lg_u64 vcc, 0
	s_subb_u32 s24, s0, s21
	v_subrev_co_u32_e64 v6, s[0:1], s20, v3
	s_cmp_lg_u64 s[0:1], 0
	s_subb_u32 s24, s24, 0
	s_cmp_ge_u32 s24, s21
	s_cselect_b32 s27, -1, 0
	v_cmp_le_u32_e64 s[0:1], s20, v6
	s_cmp_eq_u32 s24, s21
	v_cndmask_b32_e64 v6, 0, -1, s[0:1]
	v_mov_b32_e32 v7, s27
	s_cselect_b64 s[0:1], -1, 0
	v_cndmask_b32_e64 v6, v7, v6, s[0:1]
	s_add_u32 s0, s8, 1
	s_addc_u32 s24, s13, 0
	s_add_u32 s1, s8, 2
	s_addc_u32 s27, s13, 0
	v_mov_b32_e32 v7, s0
	v_mov_b32_e32 v8, s1
	v_cmp_ne_u32_e64 s[0:1], 0, v6
	v_cndmask_b32_e64 v6, v7, v8, s[0:1]
	v_mov_b32_e32 v7, s24
	v_mov_b32_e32 v8, s27
	s_cmp_lg_u64 vcc, 0
	v_cndmask_b32_e64 v7, v7, v8, s[0:1]
	s_subb_u32 s0, s25, s26
	s_cmp_ge_u32 s0, s21
	s_cselect_b32 s1, -1, 0
	v_cmp_le_u32_e32 vcc, s20, v3
	s_cmp_eq_u32 s0, s21
	v_cndmask_b32_e64 v3, 0, -1, vcc
	v_mov_b32_e32 v8, s1
	s_cselect_b64 vcc, -1, 0
	v_cndmask_b32_e32 v3, v8, v3, vcc
	v_mov_b32_e32 v8, s13
	v_cmp_ne_u32_e32 vcc, 0, v3
	v_cndmask_b32_e32 v3, v8, v7, vcc
	v_mov_b32_e32 v7, s8
	v_cndmask_b32_e32 v6, v7, v6, vcc
	s_xor_b64 s[0:1], s[22:23], s[18:19]
	v_xor_b32_e32 v6, s0, v6
	v_xor_b32_e32 v3, s1, v3
	v_mov_b32_e32 v7, s1
	v_subrev_co_u32_e32 v8, vcc, s0, v6
	v_subb_co_u32_e32 v3, vcc, v3, v7, vcc
	s_cbranch_execnz .LBB2_11
.LBB2_10:
	v_cvt_f32_u32_e32 v3, s10
	s_sub_i32 s0, 0, s10
	s_mov_b32 s1, 0
	v_rcp_iflag_f32_e32 v3, v3
	v_mul_f32_e32 v3, 0x4f7ffffe, v3
	v_cvt_u32_f32_e32 v3, v3
	v_readfirstlane_b32 s8, v3
	s_mul_i32 s0, s0, s8
	s_mul_hi_u32 s0, s8, s0
	s_add_i32 s8, s8, s0
	s_mul_hi_u32 s0, s12, s8
	s_mul_i32 s13, s0, s10
	s_sub_i32 s12, s12, s13
	s_add_i32 s8, s0, 1
	s_sub_i32 s13, s12, s10
	s_cmp_ge_u32 s12, s10
	s_cselect_b32 s0, s8, s0
	s_cselect_b32 s12, s13, s12
	s_add_i32 s8, s0, 1
	s_cmp_ge_u32 s12, s10
	s_cselect_b32 s0, s8, s0
	v_pk_mov_b32 v[8:9], s[0:1], s[0:1] op_sel:[0,1]
.LBB2_11:
	v_mov_b32_e32 v3, s9
	v_sub_co_u32_e32 v6, vcc, s7, v4
	v_subb_co_u32_e32 v3, vcc, v3, v5, vcc
	v_mul_lo_u32 v3, v3, v4
	v_mul_lo_u32 v5, v6, v5
	v_mad_u64_u32 v[6:7], s[0:1], v6, v4, 0
	v_add3_u32 v7, v7, v5, v3
	v_ashrrev_i64 v[6:7], 1, v[6:7]
	v_add_co_u32_e32 v2, vcc, v4, v2
	v_sub_co_u32_e32 v6, vcc, v2, v6
	v_add_co_u32_e32 v2, vcc, v8, v4
.LBB2_12:
	s_andn2_saveexec_b64 s[2:3], s[2:3]
	s_cbranch_execz .LBB2_18
; %bb.13:
	s_waitcnt lgkmcnt(0)
	v_or_b32_e32 v3, s11, v1
	v_mov_b32_e32 v2, 0
	v_cmp_ne_u64_e32 vcc, 0, v[2:3]
                                        ; implicit-def: $vgpr2_vgpr3
	s_and_saveexec_b64 s[0:1], vcc
	s_xor_b64 s[8:9], exec, s[0:1]
	s_cbranch_execz .LBB2_15
; %bb.14:
	s_ashr_i32 s12, s11, 31
	s_add_u32 s0, s10, s12
	s_mov_b32 s13, s12
	s_addc_u32 s1, s11, s12
	s_xor_b64 s[16:17], s[0:1], s[12:13]
	v_cvt_f32_u32_e32 v2, s16
	v_cvt_f32_u32_e32 v3, s17
	s_sub_u32 s0, 0, s16
	s_subb_u32 s1, 0, s17
	v_madmk_f32 v2, v3, 0x4f800000, v2
	v_rcp_f32_e32 v2, v2
	v_mul_f32_e32 v2, 0x5f7ffffc, v2
	v_mul_f32_e32 v3, 0x2f800000, v2
	v_trunc_f32_e32 v3, v3
	v_madmk_f32 v2, v3, 0xcf800000, v2
	v_cvt_u32_f32_e32 v3, v3
	v_cvt_u32_f32_e32 v2, v2
	v_mul_lo_u32 v4, s0, v3
	v_mul_hi_u32 v6, s0, v2
	v_mul_lo_u32 v5, s1, v2
	v_add_u32_e32 v4, v6, v4
	v_mul_lo_u32 v7, s0, v2
	v_add_u32_e32 v4, v4, v5
	v_mul_lo_u32 v6, v2, v4
	v_mul_hi_u32 v8, v2, v7
	v_mul_hi_u32 v5, v2, v4
	v_add_co_u32_e32 v6, vcc, v8, v6
	v_addc_co_u32_e32 v5, vcc, 0, v5, vcc
	v_mul_hi_u32 v9, v3, v7
	v_mul_lo_u32 v7, v3, v7
	v_add_co_u32_e32 v6, vcc, v6, v7
	v_mul_hi_u32 v8, v3, v4
	v_addc_co_u32_e32 v5, vcc, v5, v9, vcc
	v_addc_co_u32_e32 v6, vcc, 0, v8, vcc
	v_mul_lo_u32 v4, v3, v4
	v_add_co_u32_e32 v4, vcc, v5, v4
	v_addc_co_u32_e32 v5, vcc, 0, v6, vcc
	v_add_co_u32_e32 v2, vcc, v2, v4
	v_addc_co_u32_e32 v3, vcc, v3, v5, vcc
	v_mul_lo_u32 v4, s0, v3
	v_mul_hi_u32 v5, s0, v2
	v_add_u32_e32 v4, v5, v4
	v_mul_lo_u32 v5, s1, v2
	v_add_u32_e32 v4, v4, v5
	v_mul_lo_u32 v6, s0, v2
	v_mul_hi_u32 v7, v3, v6
	v_mul_lo_u32 v8, v3, v6
	v_mul_lo_u32 v10, v2, v4
	v_mul_hi_u32 v6, v2, v6
	v_mul_hi_u32 v9, v2, v4
	v_add_co_u32_e32 v6, vcc, v6, v10
	v_addc_co_u32_e32 v9, vcc, 0, v9, vcc
	v_add_co_u32_e32 v6, vcc, v6, v8
	v_mul_hi_u32 v5, v3, v4
	v_addc_co_u32_e32 v6, vcc, v9, v7, vcc
	v_addc_co_u32_e32 v5, vcc, 0, v5, vcc
	v_mul_lo_u32 v4, v3, v4
	v_add_co_u32_e32 v4, vcc, v6, v4
	v_addc_co_u32_e32 v5, vcc, 0, v5, vcc
	v_add_co_u32_e32 v4, vcc, v2, v4
	v_addc_co_u32_e32 v5, vcc, v3, v5, vcc
	v_ashrrev_i32_e32 v6, 31, v1
	v_add_co_u32_e32 v2, vcc, v0, v6
	v_addc_co_u32_e32 v3, vcc, v1, v6, vcc
	v_xor_b32_e32 v8, v2, v6
	v_xor_b32_e32 v7, v3, v6
	v_mad_u64_u32 v[2:3], s[0:1], v8, v5, 0
	v_mul_hi_u32 v9, v8, v4
	v_add_co_u32_e32 v9, vcc, v9, v2
	v_addc_co_u32_e32 v10, vcc, 0, v3, vcc
	v_mad_u64_u32 v[2:3], s[0:1], v7, v5, 0
	v_mad_u64_u32 v[4:5], s[0:1], v7, v4, 0
	v_add_co_u32_e32 v4, vcc, v9, v4
	v_addc_co_u32_e32 v4, vcc, v10, v5, vcc
	v_addc_co_u32_e32 v3, vcc, 0, v3, vcc
	v_add_co_u32_e32 v4, vcc, v4, v2
	v_addc_co_u32_e32 v5, vcc, 0, v3, vcc
	v_mul_lo_u32 v9, s17, v4
	v_mul_lo_u32 v10, s16, v5
	v_mad_u64_u32 v[2:3], s[0:1], s16, v4, 0
	v_add3_u32 v3, v3, v10, v9
	v_sub_u32_e32 v9, v7, v3
	v_mov_b32_e32 v10, s17
	v_sub_co_u32_e32 v2, vcc, v8, v2
	v_subb_co_u32_e64 v8, s[0:1], v9, v10, vcc
	v_subrev_co_u32_e64 v9, s[0:1], s16, v2
	v_subbrev_co_u32_e64 v8, s[0:1], 0, v8, s[0:1]
	v_cmp_le_u32_e64 s[0:1], s17, v8
	v_cndmask_b32_e64 v10, 0, -1, s[0:1]
	v_cmp_le_u32_e64 s[0:1], s16, v9
	v_cndmask_b32_e64 v9, 0, -1, s[0:1]
	v_cmp_eq_u32_e64 s[0:1], s17, v8
	v_cndmask_b32_e64 v8, v10, v9, s[0:1]
	v_add_co_u32_e64 v9, s[0:1], 2, v4
	v_subb_co_u32_e32 v3, vcc, v7, v3, vcc
	v_addc_co_u32_e64 v10, s[0:1], 0, v5, s[0:1]
	v_cmp_le_u32_e32 vcc, s17, v3
	v_add_co_u32_e64 v11, s[0:1], 1, v4
	v_cndmask_b32_e64 v7, 0, -1, vcc
	v_cmp_le_u32_e32 vcc, s16, v2
	v_addc_co_u32_e64 v12, s[0:1], 0, v5, s[0:1]
	v_cndmask_b32_e64 v2, 0, -1, vcc
	v_cmp_eq_u32_e32 vcc, s17, v3
	v_cmp_ne_u32_e64 s[0:1], 0, v8
	v_cndmask_b32_e32 v2, v7, v2, vcc
	v_cndmask_b32_e64 v8, v12, v10, s[0:1]
	v_cmp_ne_u32_e32 vcc, 0, v2
	v_cndmask_b32_e64 v3, v11, v9, s[0:1]
	v_cndmask_b32_e32 v2, v5, v8, vcc
	v_cndmask_b32_e32 v3, v4, v3, vcc
	v_xor_b32_e32 v4, s12, v6
	v_xor_b32_e32 v5, v2, v4
	;; [unrolled: 1-line block ×3, first 2 shown]
	v_sub_co_u32_e32 v2, vcc, v2, v4
	v_subb_co_u32_e32 v3, vcc, v5, v4, vcc
.LBB2_15:
	s_andn2_saveexec_b64 s[0:1], s[8:9]
	s_cbranch_execz .LBB2_17
; %bb.16:
	v_cvt_f32_u32_e32 v2, s10
	s_sub_i32 s7, 0, s10
	v_rcp_iflag_f32_e32 v2, v2
	v_mul_f32_e32 v2, 0x4f7ffffe, v2
	v_cvt_u32_f32_e32 v2, v2
	v_mul_lo_u32 v3, s7, v2
	v_mul_hi_u32 v3, v2, v3
	v_add_u32_e32 v2, v2, v3
	v_mul_hi_u32 v2, v0, v2
	v_mul_lo_u32 v3, v2, s10
	v_sub_u32_e32 v3, v0, v3
	v_add_u32_e32 v4, 1, v2
	v_subrev_u32_e32 v5, s10, v3
	v_cmp_le_u32_e32 vcc, s10, v3
	v_cndmask_b32_e32 v3, v3, v5, vcc
	v_cndmask_b32_e32 v2, v2, v4, vcc
	v_add_u32_e32 v4, 1, v2
	v_cmp_le_u32_e32 vcc, s10, v3
	v_cndmask_b32_e32 v2, v2, v4, vcc
	v_mov_b32_e32 v3, 0
.LBB2_17:
	s_or_b64 exec, exec, s[0:1]
	v_mul_lo_u32 v3, v3, s10
	v_mul_lo_u32 v6, v2, s11
	v_mad_u64_u32 v[4:5], s[0:1], v2, s10, 0
	v_add3_u32 v3, v5, v6, v3
	v_sub_co_u32_e32 v6, vcc, v0, v4
.LBB2_18:
	s_or_b64 exec, exec, s[2:3]
	v_lshlrev_b64 v[0:1], 2, v[0:1]
	s_waitcnt lgkmcnt(0)
	v_mov_b32_e32 v4, s5
	v_add_co_u32_e32 v0, vcc, s4, v0
	v_addc_co_u32_e32 v1, vcc, v4, v1, vcc
	s_lshl_b64 s[0:1], s[14:15], 2
	global_store_dword v[0:1], v2, off
	v_mov_b32_e32 v2, s1
	v_add_co_u32_e32 v0, vcc, s0, v0
	v_add_u32_e32 v3, s6, v6
	v_addc_co_u32_e32 v1, vcc, v1, v2, vcc
	global_store_dword v[0:1], v3, off
.LBB2_19:
	s_endpgm
.LBB2_20:
                                        ; implicit-def: $vgpr8_vgpr9
	s_branch .LBB2_10
	.section	.rodata,"a",@progbits
	.p2align	6, 0x0
	.amdhsa_kernel _ZN2at6native19triu_indices_kernelIiEEvPT_lllll
		.amdhsa_group_segment_fixed_size 0
		.amdhsa_private_segment_fixed_size 0
		.amdhsa_kernarg_size 304
		.amdhsa_user_sgpr_count 6
		.amdhsa_user_sgpr_private_segment_buffer 1
		.amdhsa_user_sgpr_dispatch_ptr 0
		.amdhsa_user_sgpr_queue_ptr 0
		.amdhsa_user_sgpr_kernarg_segment_ptr 1
		.amdhsa_user_sgpr_dispatch_id 0
		.amdhsa_user_sgpr_flat_scratch_init 0
		.amdhsa_user_sgpr_kernarg_preload_length 0
		.amdhsa_user_sgpr_kernarg_preload_offset 0
		.amdhsa_user_sgpr_private_segment_size 0
		.amdhsa_uses_dynamic_stack 0
		.amdhsa_system_sgpr_private_segment_wavefront_offset 0
		.amdhsa_system_sgpr_workgroup_id_x 1
		.amdhsa_system_sgpr_workgroup_id_y 0
		.amdhsa_system_sgpr_workgroup_id_z 0
		.amdhsa_system_sgpr_workgroup_info 0
		.amdhsa_system_vgpr_workitem_id 0
		.amdhsa_next_free_vgpr 18
		.amdhsa_next_free_sgpr 28
		.amdhsa_accum_offset 20
		.amdhsa_reserve_vcc 1
		.amdhsa_reserve_flat_scratch 0
		.amdhsa_float_round_mode_32 0
		.amdhsa_float_round_mode_16_64 0
		.amdhsa_float_denorm_mode_32 3
		.amdhsa_float_denorm_mode_16_64 3
		.amdhsa_dx10_clamp 1
		.amdhsa_ieee_mode 1
		.amdhsa_fp16_overflow 0
		.amdhsa_tg_split 0
		.amdhsa_exception_fp_ieee_invalid_op 0
		.amdhsa_exception_fp_denorm_src 0
		.amdhsa_exception_fp_ieee_div_zero 0
		.amdhsa_exception_fp_ieee_overflow 0
		.amdhsa_exception_fp_ieee_underflow 0
		.amdhsa_exception_fp_ieee_inexact 0
		.amdhsa_exception_int_div_zero 0
	.end_amdhsa_kernel
	.section	.text._ZN2at6native19triu_indices_kernelIiEEvPT_lllll,"axG",@progbits,_ZN2at6native19triu_indices_kernelIiEEvPT_lllll,comdat
.Lfunc_end2:
	.size	_ZN2at6native19triu_indices_kernelIiEEvPT_lllll, .Lfunc_end2-_ZN2at6native19triu_indices_kernelIiEEvPT_lllll
                                        ; -- End function
	.section	.AMDGPU.csdata,"",@progbits
; Kernel info:
; codeLenInByte = 2588
; NumSgprs: 32
; NumVgprs: 18
; NumAgprs: 0
; TotalNumVgprs: 18
; ScratchSize: 0
; MemoryBound: 0
; FloatMode: 240
; IeeeMode: 1
; LDSByteSize: 0 bytes/workgroup (compile time only)
; SGPRBlocks: 3
; VGPRBlocks: 2
; NumSGPRsForWavesPerEU: 32
; NumVGPRsForWavesPerEU: 18
; AccumOffset: 20
; Occupancy: 8
; WaveLimiterHint : 0
; COMPUTE_PGM_RSRC2:SCRATCH_EN: 0
; COMPUTE_PGM_RSRC2:USER_SGPR: 6
; COMPUTE_PGM_RSRC2:TRAP_HANDLER: 0
; COMPUTE_PGM_RSRC2:TGID_X_EN: 1
; COMPUTE_PGM_RSRC2:TGID_Y_EN: 0
; COMPUTE_PGM_RSRC2:TGID_Z_EN: 0
; COMPUTE_PGM_RSRC2:TIDIG_COMP_CNT: 0
; COMPUTE_PGM_RSRC3_GFX90A:ACCUM_OFFSET: 4
; COMPUTE_PGM_RSRC3_GFX90A:TG_SPLIT: 0
	.section	.text._ZN2at6native19triu_indices_kernelIlEEvPT_lllll,"axG",@progbits,_ZN2at6native19triu_indices_kernelIlEEvPT_lllll,comdat
	.protected	_ZN2at6native19triu_indices_kernelIlEEvPT_lllll ; -- Begin function _ZN2at6native19triu_indices_kernelIlEEvPT_lllll
	.globl	_ZN2at6native19triu_indices_kernelIlEEvPT_lllll
	.p2align	8
	.type	_ZN2at6native19triu_indices_kernelIlEEvPT_lllll,@function
_ZN2at6native19triu_indices_kernelIlEEvPT_lllll: ; @_ZN2at6native19triu_indices_kernelIlEEvPT_lllll
; %bb.0:
	s_load_dword s0, s[4:5], 0x3c
	s_load_dwordx4 s[12:15], s[4:5], 0x20
	v_mov_b32_e32 v1, 0
	v_mov_b32_e32 v2, s6
	s_waitcnt lgkmcnt(0)
	s_and_b32 s0, s0, 0xffff
	v_mad_u64_u32 v[0:1], s[0:1], s0, v2, v[0:1]
	v_cmp_gt_i64_e32 vcc, s[14:15], v[0:1]
	s_and_saveexec_b64 s[0:1], vcc
	s_cbranch_execz .LBB3_19
; %bb.1:
	s_load_dwordx8 s[4:11], s[4:5], 0x0
	v_cmp_le_i64_e32 vcc, s[12:13], v[0:1]
                                        ; implicit-def: $vgpr6_vgpr7
                                        ; implicit-def: $vgpr2_vgpr3
	s_and_saveexec_b64 s[0:1], vcc
	s_xor_b64 s[2:3], exec, s[0:1]
	s_cbranch_execz .LBB3_12
; %bb.2:
	s_waitcnt lgkmcnt(0)
	s_lshl_b64 s[8:9], s[8:9], 1
	s_not_b64 s[0:1], s[8:9]
	v_mov_b32_e32 v3, s13
	v_subrev_co_u32_e32 v2, vcc, s12, v0
	s_mul_i32 s1, s0, s1
	s_mul_hi_u32 s16, s0, s0
	v_subb_co_u32_e32 v3, vcc, v1, v3, vcc
	s_add_i32 s16, s16, s1
	v_lshlrev_b64 v[4:5], 3, v[2:3]
	s_add_i32 s1, s16, s1
	s_mul_i32 s0, s0, s0
	v_mov_b32_e32 v7, s1
	v_sub_co_u32_e32 v6, vcc, s0, v4
	v_subb_co_u32_e32 v7, vcc, v7, v5, vcc
	v_cvt_f64_i32_e32 v[4:5], v7
	v_ldexp_f64 v[4:5], v[4:5], 32
	v_cvt_f64_u32_e32 v[8:9], v6
	s_mov_b32 s18, 0
	v_add_f64 v[4:5], v[4:5], v[8:9]
	s_brev_b32 s19, 8
	v_cmp_gt_f64_e32 vcc, s[18:19], v[4:5]
	v_cndmask_b32_e64 v8, 0, 1, vcc
	v_lshlrev_b32_e32 v8, 8, v8
	v_ldexp_f64 v[4:5], v[4:5], v8
	v_rsq_f64_e32 v[8:9], v[4:5]
	s_or_b32 s8, s8, 1
	s_movk_i32 s1, 0xffe0
	s_mov_b32 s0, 0
	v_mul_f64 v[12:13], v[4:5], v[8:9]
	v_mul_f64 v[8:9], v[8:9], 0.5
	v_fma_f64 v[10:11], -v[8:9], v[12:13], 0.5
	v_fmac_f64_e32 v[12:13], v[12:13], v[10:11]
	v_fma_f64 v[14:15], -v[12:13], v[12:13], v[4:5]
	v_fmac_f64_e32 v[8:9], v[8:9], v[10:11]
	v_fmac_f64_e32 v[12:13], v[14:15], v[8:9]
	v_fma_f64 v[10:11], -v[12:13], v[12:13], v[4:5]
	v_fmac_f64_e32 v[12:13], v[10:11], v[8:9]
	v_mov_b32_e32 v10, 0xffffff80
	v_cndmask_b32_e32 v8, 0, v10, vcc
	v_mov_b32_e32 v11, 0x260
	v_ldexp_f64 v[8:9], v[12:13], v8
	v_cmp_class_f64_e32 vcc, v[4:5], v11
	v_cndmask_b32_e32 v9, v9, v5, vcc
	v_cndmask_b32_e32 v8, v8, v4, vcc
	v_cvt_f64_i32_e32 v[4:5], s9
	v_ldexp_f64 v[4:5], v[4:5], 32
	v_cvt_f64_u32_e32 v[12:13], s8
	v_add_f64 v[4:5], v[4:5], v[12:13]
	v_add_f64 v[4:5], v[4:5], -v[8:9]
	v_mul_f64 v[4:5], v[4:5], 0.5
	v_floor_f64_e32 v[4:5], v[4:5]
	v_ldexp_f64 v[12:13], v[4:5], s1
	v_floor_f64_e32 v[12:13], v[12:13]
	v_fmac_f64_e32 v[4:5], 0xc1f00000, v[12:13]
	v_cvt_u32_f64_e32 v4, v[4:5]
	v_cvt_i32_f64_e32 v5, v[12:13]
	v_mul_f64 v[12:13], v[8:9], v[8:9]
	v_trunc_f64_e32 v[12:13], v[12:13]
	v_ldexp_f64 v[14:15], v[12:13], s1
	v_floor_f64_e32 v[14:15], v[14:15]
	v_fmac_f64_e32 v[12:13], 0xc1f00000, v[14:15]
	v_cvt_u32_f64_e32 v12, v[12:13]
	v_cvt_i32_f64_e32 v13, v[14:15]
	v_cmp_ne_u64_e32 vcc, v[6:7], v[12:13]
	s_and_saveexec_b64 s[16:17], vcc
	s_cbranch_execz .LBB3_8
; %bb.3:
	v_floor_f64_e32 v[8:9], v[8:9]
	v_ldexp_f64 v[12:13], v[8:9], s1
	v_floor_f64_e32 v[12:13], v[12:13]
	v_fmac_f64_e32 v[8:9], 0xc1f00000, v[12:13]
	v_cvt_i32_f64_e32 v14, v[12:13]
	v_cvt_u32_f64_e32 v8, v[8:9]
	v_mul_lo_u32 v12, v8, v14
	v_mad_u64_u32 v[8:9], s[20:21], v8, v8, 0
	v_add3_u32 v9, v9, v12, v12
	v_sub_co_u32_e32 v8, vcc, v6, v8
	v_subb_co_u32_e32 v6, vcc, v7, v9, vcc
	v_cvt_f64_i32_e32 v[6:7], v6
	v_ldexp_f64 v[6:7], v[6:7], 32
	v_cvt_f64_u32_e32 v[8:9], v8
	v_add_f64 v[6:7], v[6:7], v[8:9]
	v_cmp_lt_f64_e64 vcc, |v[6:7]|, s[18:19]
	v_cndmask_b32_e64 v8, 0, 1, vcc
	v_lshlrev_b32_e32 v8, 8, v8
	v_ldexp_f64 v[6:7], |v[6:7]|, v8
	v_rsq_f64_e32 v[8:9], v[6:7]
	v_mul_f64 v[12:13], v[6:7], v[8:9]
	v_mul_f64 v[8:9], v[8:9], 0.5
	v_fma_f64 v[14:15], -v[8:9], v[12:13], 0.5
	v_fmac_f64_e32 v[12:13], v[12:13], v[14:15]
	v_fma_f64 v[16:17], -v[12:13], v[12:13], v[6:7]
	v_fmac_f64_e32 v[8:9], v[8:9], v[14:15]
	v_fmac_f64_e32 v[12:13], v[16:17], v[8:9]
	v_fma_f64 v[14:15], -v[12:13], v[12:13], v[6:7]
	v_fmac_f64_e32 v[12:13], v[14:15], v[8:9]
	v_cndmask_b32_e32 v8, 0, v10, vcc
	v_ldexp_f64 v[8:9], v[12:13], v8
	v_cmp_class_f64_e32 vcc, v[6:7], v11
	v_cndmask_b32_e32 v7, v9, v7, vcc
	v_cndmask_b32_e32 v6, v8, v6, vcc
	v_ceil_f64_e32 v[6:7], v[6:7]
	v_ldexp_f64 v[8:9], v[6:7], s1
	v_floor_f64_e32 v[8:9], v[8:9]
	v_fmac_f64_e32 v[6:7], 0xc1f00000, v[8:9]
	v_cvt_u32_f64_e32 v10, v[6:7]
	v_cvt_i32_f64_e32 v11, v[8:9]
	v_sub_co_u32_e32 v6, vcc, v4, v10
	v_subb_co_u32_e32 v7, vcc, v5, v11, vcc
	v_cmp_gt_i64_e32 vcc, v[4:5], v[10:11]
	v_cndmask_b32_e32 v7, 0, v7, vcc
	v_cndmask_b32_e32 v6, 0, v6, vcc
	v_add_co_u32_e32 v4, vcc, v4, v10
	v_addc_co_u32_e32 v5, vcc, v5, v11, vcc
	v_add_co_u32_e32 v4, vcc, 1, v4
	v_addc_co_u32_e32 v5, vcc, 0, v5, vcc
	;; [unrolled: 2-line block ×3, first 2 shown]
	v_cmp_lt_i64_e32 vcc, v[8:9], v[4:5]
	s_and_saveexec_b64 s[18:19], vcc
	s_cbranch_execz .LBB3_7
; %bb.4:
	v_lshlrev_b64 v[8:9], 1, v[2:3]
	s_mov_b64 s[20:21], 0
	v_mov_b32_e32 v10, s9
.LBB3_5:                                ; =>This Inner Loop Header: Depth=1
	v_add_co_u32_e32 v12, vcc, v6, v4
	v_addc_co_u32_e32 v13, vcc, v7, v5, vcc
	v_ashrrev_i64 v[12:13], 1, v[12:13]
	v_sub_co_u32_e32 v11, vcc, s8, v12
	v_subb_co_u32_e32 v14, vcc, v10, v13, vcc
	v_mul_lo_u32 v16, v14, v12
	v_mul_lo_u32 v17, v11, v13
	v_mad_u64_u32 v[14:15], s[22:23], v11, v12, 0
	v_add3_u32 v15, v15, v17, v16
	v_cmp_gt_i64_e32 vcc, v[14:15], v[8:9]
	v_cndmask_b32_e32 v6, v12, v6, vcc
	v_cndmask_b32_e32 v7, v13, v7, vcc
	;; [unrolled: 1-line block ×4, first 2 shown]
	v_add_co_u32_e32 v12, vcc, 1, v6
	v_addc_co_u32_e32 v13, vcc, 0, v7, vcc
	v_cmp_ge_i64_e32 vcc, v[12:13], v[4:5]
	s_or_b64 s[20:21], vcc, s[20:21]
	s_andn2_b64 exec, exec, s[20:21]
	s_cbranch_execnz .LBB3_5
; %bb.6:
	s_or_b64 exec, exec, s[20:21]
.LBB3_7:
	s_or_b64 exec, exec, s[18:19]
	v_pk_mov_b32 v[4:5], v[6:7], v[6:7] op_sel:[0,1]
.LBB3_8:
	s_or_b64 exec, exec, s[16:17]
	s_or_b64 s[16:17], s[12:13], s[10:11]
	s_mov_b32 s1, s17
	s_cmp_lg_u64 s[0:1], 0
	s_cbranch_scc0 .LBB3_20
; %bb.9:
	s_ashr_i32 s18, s11, 31
	s_add_u32 s0, s10, s18
	s_mov_b32 s19, s18
	s_addc_u32 s1, s11, s18
	s_xor_b64 s[20:21], s[0:1], s[18:19]
	v_cvt_f32_u32_e32 v6, s20
	v_cvt_f32_u32_e32 v7, s21
	s_sub_u32 s0, 0, s20
	s_subb_u32 s1, 0, s21
	v_madmk_f32 v6, v7, 0x4f800000, v6
	v_rcp_f32_e32 v6, v6
	v_mul_f32_e32 v6, 0x5f7ffffc, v6
	v_mul_f32_e32 v7, 0x2f800000, v6
	v_trunc_f32_e32 v7, v7
	v_madmk_f32 v6, v7, 0xcf800000, v6
	v_cvt_u32_f32_e32 v7, v7
	v_cvt_u32_f32_e32 v6, v6
	v_readfirstlane_b32 s22, v7
	v_readfirstlane_b32 s23, v6
	s_mul_i32 s24, s0, s22
	s_mul_hi_u32 s26, s0, s23
	s_mul_i32 s25, s1, s23
	s_add_i32 s24, s26, s24
	s_add_i32 s24, s24, s25
	s_mul_i32 s27, s0, s23
	s_mul_hi_u32 s25, s23, s24
	s_mul_i32 s26, s23, s24
	s_mul_hi_u32 s23, s23, s27
	s_add_u32 s23, s23, s26
	s_addc_u32 s25, 0, s25
	s_mul_hi_u32 s28, s22, s27
	s_mul_i32 s27, s22, s27
	s_add_u32 s23, s23, s27
	s_mul_hi_u32 s26, s22, s24
	s_addc_u32 s23, s25, s28
	s_addc_u32 s25, s26, 0
	s_mul_i32 s24, s22, s24
	s_add_u32 s23, s23, s24
	s_addc_u32 s24, 0, s25
	v_add_co_u32_e32 v6, vcc, s23, v6
	s_cmp_lg_u64 vcc, 0
	s_addc_u32 s22, s22, s24
	v_readfirstlane_b32 s24, v6
	s_mul_i32 s23, s0, s22
	s_mul_hi_u32 s25, s0, s24
	s_add_i32 s23, s25, s23
	s_mul_i32 s1, s1, s24
	s_add_i32 s23, s23, s1
	s_mul_i32 s0, s0, s24
	s_mul_hi_u32 s25, s22, s0
	s_mul_i32 s26, s22, s0
	s_mul_i32 s28, s24, s23
	s_mul_hi_u32 s0, s24, s0
	s_mul_hi_u32 s27, s24, s23
	s_add_u32 s0, s0, s28
	s_addc_u32 s24, 0, s27
	s_add_u32 s0, s0, s26
	s_mul_hi_u32 s1, s22, s23
	s_addc_u32 s0, s24, s25
	s_addc_u32 s1, s1, 0
	s_mul_i32 s23, s22, s23
	s_add_u32 s0, s0, s23
	s_addc_u32 s1, 0, s1
	v_add_co_u32_e32 v6, vcc, s0, v6
	s_cmp_lg_u64 vcc, 0
	s_addc_u32 s26, s22, s1
	s_ashr_i32 s22, s13, 31
	s_add_u32 s0, s12, s22
	s_mov_b32 s23, s22
	s_addc_u32 s1, s13, s22
	s_xor_b64 s[24:25], s[0:1], s[22:23]
	v_readfirstlane_b32 s13, v6
	s_mul_i32 s1, s24, s26
	s_mul_hi_u32 s27, s24, s13
	s_mul_hi_u32 s0, s24, s26
	s_add_u32 s1, s27, s1
	s_addc_u32 s0, 0, s0
	s_mul_hi_u32 s28, s25, s13
	s_mul_i32 s13, s25, s13
	s_add_u32 s1, s1, s13
	s_mul_hi_u32 s27, s25, s26
	s_addc_u32 s0, s0, s28
	s_addc_u32 s1, s27, 0
	s_mul_i32 s13, s25, s26
	s_add_u32 s13, s0, s13
	s_addc_u32 s26, 0, s1
	s_mul_i32 s0, s20, s26
	s_mul_hi_u32 s1, s20, s13
	s_add_i32 s0, s1, s0
	s_mul_i32 s1, s21, s13
	s_add_i32 s27, s0, s1
	s_mul_i32 s1, s20, s13
	v_mov_b32_e32 v6, s1
	s_sub_i32 s0, s25, s27
	v_sub_co_u32_e32 v6, vcc, s24, v6
	s_cmp_lg_u64 vcc, 0
	s_subb_u32 s24, s0, s21
	v_subrev_co_u32_e64 v7, s[0:1], s20, v6
	s_cmp_lg_u64 s[0:1], 0
	s_subb_u32 s24, s24, 0
	s_cmp_ge_u32 s24, s21
	s_cselect_b32 s28, -1, 0
	v_cmp_le_u32_e64 s[0:1], s20, v7
	s_cmp_eq_u32 s24, s21
	v_cndmask_b32_e64 v7, 0, -1, s[0:1]
	v_mov_b32_e32 v8, s28
	s_cselect_b64 s[0:1], -1, 0
	v_cndmask_b32_e64 v7, v8, v7, s[0:1]
	s_add_u32 s0, s13, 1
	s_addc_u32 s24, s26, 0
	s_add_u32 s1, s13, 2
	s_addc_u32 s28, s26, 0
	v_mov_b32_e32 v8, s0
	v_mov_b32_e32 v9, s1
	v_cmp_ne_u32_e64 s[0:1], 0, v7
	v_cndmask_b32_e64 v7, v8, v9, s[0:1]
	v_mov_b32_e32 v8, s24
	v_mov_b32_e32 v9, s28
	s_cmp_lg_u64 vcc, 0
	v_cndmask_b32_e64 v8, v8, v9, s[0:1]
	s_subb_u32 s0, s25, s27
	s_cmp_ge_u32 s0, s21
	s_cselect_b32 s1, -1, 0
	v_cmp_le_u32_e32 vcc, s20, v6
	s_cmp_eq_u32 s0, s21
	v_cndmask_b32_e64 v6, 0, -1, vcc
	v_mov_b32_e32 v9, s1
	s_cselect_b64 vcc, -1, 0
	v_cndmask_b32_e32 v6, v9, v6, vcc
	v_mov_b32_e32 v9, s26
	v_cmp_ne_u32_e32 vcc, 0, v6
	v_cndmask_b32_e32 v6, v9, v8, vcc
	v_mov_b32_e32 v8, s13
	v_cndmask_b32_e32 v7, v8, v7, vcc
	s_xor_b64 s[0:1], s[22:23], s[18:19]
	v_xor_b32_e32 v7, s0, v7
	v_xor_b32_e32 v6, s1, v6
	v_mov_b32_e32 v9, s1
	v_subrev_co_u32_e32 v8, vcc, s0, v7
	v_subb_co_u32_e32 v9, vcc, v6, v9, vcc
	s_cbranch_execnz .LBB3_11
.LBB3_10:
	v_cvt_f32_u32_e32 v6, s10
	s_sub_i32 s0, 0, s10
	s_mov_b32 s1, 0
	v_rcp_iflag_f32_e32 v6, v6
	v_mul_f32_e32 v6, 0x4f7ffffe, v6
	v_cvt_u32_f32_e32 v6, v6
	v_readfirstlane_b32 s13, v6
	s_mul_i32 s0, s0, s13
	s_mul_hi_u32 s0, s13, s0
	s_add_i32 s13, s13, s0
	s_mul_hi_u32 s0, s12, s13
	s_mul_i32 s16, s0, s10
	s_sub_i32 s12, s12, s16
	s_add_i32 s13, s0, 1
	s_sub_i32 s16, s12, s10
	s_cmp_ge_u32 s12, s10
	s_cselect_b32 s0, s13, s0
	s_cselect_b32 s12, s16, s12
	s_add_i32 s13, s0, 1
	s_cmp_ge_u32 s12, s10
	s_cselect_b32 s0, s13, s0
	v_pk_mov_b32 v[8:9], s[0:1], s[0:1] op_sel:[0,1]
.LBB3_11:
	v_mov_b32_e32 v6, s9
	v_sub_co_u32_e32 v7, vcc, s8, v4
	v_subb_co_u32_e32 v6, vcc, v6, v5, vcc
	v_mul_lo_u32 v10, v6, v4
	v_mul_lo_u32 v11, v7, v5
	v_mad_u64_u32 v[6:7], s[0:1], v7, v4, 0
	v_add3_u32 v7, v7, v11, v10
	v_add_co_u32_e32 v2, vcc, v4, v2
	v_ashrrev_i64 v[6:7], 1, v[6:7]
	v_addc_co_u32_e32 v3, vcc, v5, v3, vcc
	v_sub_co_u32_e32 v6, vcc, v2, v6
	v_subb_co_u32_e32 v7, vcc, v3, v7, vcc
	v_add_co_u32_e32 v2, vcc, v8, v4
	v_addc_co_u32_e32 v3, vcc, v9, v5, vcc
.LBB3_12:
	s_andn2_saveexec_b64 s[2:3], s[2:3]
	s_cbranch_execz .LBB3_18
; %bb.13:
	s_waitcnt lgkmcnt(0)
	v_or_b32_e32 v3, s11, v1
	v_mov_b32_e32 v2, 0
	v_cmp_ne_u64_e32 vcc, 0, v[2:3]
                                        ; implicit-def: $vgpr2_vgpr3
	s_and_saveexec_b64 s[0:1], vcc
	s_xor_b64 s[8:9], exec, s[0:1]
	s_cbranch_execz .LBB3_15
; %bb.14:
	s_ashr_i32 s12, s11, 31
	s_add_u32 s0, s10, s12
	s_mov_b32 s13, s12
	s_addc_u32 s1, s11, s12
	s_xor_b64 s[16:17], s[0:1], s[12:13]
	v_cvt_f32_u32_e32 v2, s16
	v_cvt_f32_u32_e32 v3, s17
	s_sub_u32 s0, 0, s16
	s_subb_u32 s1, 0, s17
	v_madmk_f32 v2, v3, 0x4f800000, v2
	v_rcp_f32_e32 v2, v2
	v_mul_f32_e32 v2, 0x5f7ffffc, v2
	v_mul_f32_e32 v3, 0x2f800000, v2
	v_trunc_f32_e32 v3, v3
	v_madmk_f32 v2, v3, 0xcf800000, v2
	v_cvt_u32_f32_e32 v3, v3
	v_cvt_u32_f32_e32 v2, v2
	v_mul_lo_u32 v4, s0, v3
	v_mul_hi_u32 v6, s0, v2
	v_mul_lo_u32 v5, s1, v2
	v_add_u32_e32 v4, v6, v4
	v_mul_lo_u32 v7, s0, v2
	v_add_u32_e32 v4, v4, v5
	v_mul_lo_u32 v6, v2, v4
	v_mul_hi_u32 v8, v2, v7
	v_mul_hi_u32 v5, v2, v4
	v_add_co_u32_e32 v6, vcc, v8, v6
	v_addc_co_u32_e32 v5, vcc, 0, v5, vcc
	v_mul_hi_u32 v9, v3, v7
	v_mul_lo_u32 v7, v3, v7
	v_add_co_u32_e32 v6, vcc, v6, v7
	v_mul_hi_u32 v8, v3, v4
	v_addc_co_u32_e32 v5, vcc, v5, v9, vcc
	v_addc_co_u32_e32 v6, vcc, 0, v8, vcc
	v_mul_lo_u32 v4, v3, v4
	v_add_co_u32_e32 v4, vcc, v5, v4
	v_addc_co_u32_e32 v5, vcc, 0, v6, vcc
	v_add_co_u32_e32 v2, vcc, v2, v4
	v_addc_co_u32_e32 v3, vcc, v3, v5, vcc
	v_mul_lo_u32 v4, s0, v3
	v_mul_hi_u32 v5, s0, v2
	v_add_u32_e32 v4, v5, v4
	v_mul_lo_u32 v5, s1, v2
	v_add_u32_e32 v4, v4, v5
	v_mul_lo_u32 v6, s0, v2
	v_mul_hi_u32 v7, v3, v6
	v_mul_lo_u32 v8, v3, v6
	v_mul_lo_u32 v10, v2, v4
	v_mul_hi_u32 v6, v2, v6
	v_mul_hi_u32 v9, v2, v4
	v_add_co_u32_e32 v6, vcc, v6, v10
	v_addc_co_u32_e32 v9, vcc, 0, v9, vcc
	v_add_co_u32_e32 v6, vcc, v6, v8
	v_mul_hi_u32 v5, v3, v4
	v_addc_co_u32_e32 v6, vcc, v9, v7, vcc
	v_addc_co_u32_e32 v5, vcc, 0, v5, vcc
	v_mul_lo_u32 v4, v3, v4
	v_add_co_u32_e32 v4, vcc, v6, v4
	v_addc_co_u32_e32 v5, vcc, 0, v5, vcc
	v_add_co_u32_e32 v4, vcc, v2, v4
	v_addc_co_u32_e32 v5, vcc, v3, v5, vcc
	v_ashrrev_i32_e32 v6, 31, v1
	v_add_co_u32_e32 v2, vcc, v0, v6
	v_addc_co_u32_e32 v3, vcc, v1, v6, vcc
	v_xor_b32_e32 v8, v2, v6
	v_xor_b32_e32 v7, v3, v6
	v_mad_u64_u32 v[2:3], s[0:1], v8, v5, 0
	v_mul_hi_u32 v9, v8, v4
	v_add_co_u32_e32 v9, vcc, v9, v2
	v_addc_co_u32_e32 v10, vcc, 0, v3, vcc
	v_mad_u64_u32 v[2:3], s[0:1], v7, v5, 0
	v_mad_u64_u32 v[4:5], s[0:1], v7, v4, 0
	v_add_co_u32_e32 v4, vcc, v9, v4
	v_addc_co_u32_e32 v4, vcc, v10, v5, vcc
	v_addc_co_u32_e32 v3, vcc, 0, v3, vcc
	v_add_co_u32_e32 v4, vcc, v4, v2
	v_addc_co_u32_e32 v5, vcc, 0, v3, vcc
	v_mul_lo_u32 v9, s17, v4
	v_mul_lo_u32 v10, s16, v5
	v_mad_u64_u32 v[2:3], s[0:1], s16, v4, 0
	v_add3_u32 v3, v3, v10, v9
	v_sub_u32_e32 v9, v7, v3
	v_mov_b32_e32 v10, s17
	v_sub_co_u32_e32 v2, vcc, v8, v2
	v_subb_co_u32_e64 v8, s[0:1], v9, v10, vcc
	v_subrev_co_u32_e64 v9, s[0:1], s16, v2
	v_subbrev_co_u32_e64 v8, s[0:1], 0, v8, s[0:1]
	v_cmp_le_u32_e64 s[0:1], s17, v8
	v_cndmask_b32_e64 v10, 0, -1, s[0:1]
	v_cmp_le_u32_e64 s[0:1], s16, v9
	v_cndmask_b32_e64 v9, 0, -1, s[0:1]
	v_cmp_eq_u32_e64 s[0:1], s17, v8
	v_cndmask_b32_e64 v8, v10, v9, s[0:1]
	v_add_co_u32_e64 v9, s[0:1], 2, v4
	v_subb_co_u32_e32 v3, vcc, v7, v3, vcc
	v_addc_co_u32_e64 v10, s[0:1], 0, v5, s[0:1]
	v_cmp_le_u32_e32 vcc, s17, v3
	v_add_co_u32_e64 v11, s[0:1], 1, v4
	v_cndmask_b32_e64 v7, 0, -1, vcc
	v_cmp_le_u32_e32 vcc, s16, v2
	v_addc_co_u32_e64 v12, s[0:1], 0, v5, s[0:1]
	v_cndmask_b32_e64 v2, 0, -1, vcc
	v_cmp_eq_u32_e32 vcc, s17, v3
	v_cmp_ne_u32_e64 s[0:1], 0, v8
	v_cndmask_b32_e32 v2, v7, v2, vcc
	v_cndmask_b32_e64 v8, v12, v10, s[0:1]
	v_cmp_ne_u32_e32 vcc, 0, v2
	v_cndmask_b32_e64 v3, v11, v9, s[0:1]
	v_cndmask_b32_e32 v2, v5, v8, vcc
	v_cndmask_b32_e32 v3, v4, v3, vcc
	v_xor_b32_e32 v4, s12, v6
	v_xor_b32_e32 v5, v2, v4
	;; [unrolled: 1-line block ×3, first 2 shown]
	v_sub_co_u32_e32 v2, vcc, v2, v4
	v_subb_co_u32_e32 v3, vcc, v5, v4, vcc
.LBB3_15:
	s_andn2_saveexec_b64 s[0:1], s[8:9]
	s_cbranch_execz .LBB3_17
; %bb.16:
	v_cvt_f32_u32_e32 v2, s10
	s_sub_i32 s8, 0, s10
	v_rcp_iflag_f32_e32 v2, v2
	v_mul_f32_e32 v2, 0x4f7ffffe, v2
	v_cvt_u32_f32_e32 v2, v2
	v_mul_lo_u32 v3, s8, v2
	v_mul_hi_u32 v3, v2, v3
	v_add_u32_e32 v2, v2, v3
	v_mul_hi_u32 v2, v0, v2
	v_mul_lo_u32 v3, v2, s10
	v_sub_u32_e32 v3, v0, v3
	v_add_u32_e32 v4, 1, v2
	v_subrev_u32_e32 v5, s10, v3
	v_cmp_le_u32_e32 vcc, s10, v3
	v_cndmask_b32_e32 v3, v3, v5, vcc
	v_cndmask_b32_e32 v2, v2, v4, vcc
	v_add_u32_e32 v4, 1, v2
	v_cmp_le_u32_e32 vcc, s10, v3
	v_cndmask_b32_e32 v2, v2, v4, vcc
	v_mov_b32_e32 v3, 0
.LBB3_17:
	s_or_b64 exec, exec, s[0:1]
	v_mul_lo_u32 v6, v3, s10
	v_mul_lo_u32 v7, v2, s11
	v_mad_u64_u32 v[4:5], s[0:1], v2, s10, 0
	v_add3_u32 v5, v5, v7, v6
	v_sub_co_u32_e32 v6, vcc, v0, v4
	v_subb_co_u32_e32 v7, vcc, v1, v5, vcc
.LBB3_18:
	s_or_b64 exec, exec, s[2:3]
	s_waitcnt lgkmcnt(0)
	v_mov_b32_e32 v5, s7
	v_add_co_u32_e32 v4, vcc, s6, v6
	v_addc_co_u32_e32 v5, vcc, v7, v5, vcc
	v_lshlrev_b64 v[0:1], 3, v[0:1]
	v_mov_b32_e32 v6, s5
	v_add_co_u32_e32 v0, vcc, s4, v0
	v_addc_co_u32_e32 v1, vcc, v6, v1, vcc
	s_lshl_b64 s[0:1], s[14:15], 3
	global_store_dwordx2 v[0:1], v[2:3], off
	v_mov_b32_e32 v2, s1
	v_add_co_u32_e32 v0, vcc, s0, v0
	v_addc_co_u32_e32 v1, vcc, v1, v2, vcc
	global_store_dwordx2 v[0:1], v[4:5], off
.LBB3_19:
	s_endpgm
.LBB3_20:
                                        ; implicit-def: $vgpr8_vgpr9
	s_branch .LBB3_10
	.section	.rodata,"a",@progbits
	.p2align	6, 0x0
	.amdhsa_kernel _ZN2at6native19triu_indices_kernelIlEEvPT_lllll
		.amdhsa_group_segment_fixed_size 0
		.amdhsa_private_segment_fixed_size 0
		.amdhsa_kernarg_size 304
		.amdhsa_user_sgpr_count 6
		.amdhsa_user_sgpr_private_segment_buffer 1
		.amdhsa_user_sgpr_dispatch_ptr 0
		.amdhsa_user_sgpr_queue_ptr 0
		.amdhsa_user_sgpr_kernarg_segment_ptr 1
		.amdhsa_user_sgpr_dispatch_id 0
		.amdhsa_user_sgpr_flat_scratch_init 0
		.amdhsa_user_sgpr_kernarg_preload_length 0
		.amdhsa_user_sgpr_kernarg_preload_offset 0
		.amdhsa_user_sgpr_private_segment_size 0
		.amdhsa_uses_dynamic_stack 0
		.amdhsa_system_sgpr_private_segment_wavefront_offset 0
		.amdhsa_system_sgpr_workgroup_id_x 1
		.amdhsa_system_sgpr_workgroup_id_y 0
		.amdhsa_system_sgpr_workgroup_id_z 0
		.amdhsa_system_sgpr_workgroup_info 0
		.amdhsa_system_vgpr_workitem_id 0
		.amdhsa_next_free_vgpr 18
		.amdhsa_next_free_sgpr 29
		.amdhsa_accum_offset 20
		.amdhsa_reserve_vcc 1
		.amdhsa_reserve_flat_scratch 0
		.amdhsa_float_round_mode_32 0
		.amdhsa_float_round_mode_16_64 0
		.amdhsa_float_denorm_mode_32 3
		.amdhsa_float_denorm_mode_16_64 3
		.amdhsa_dx10_clamp 1
		.amdhsa_ieee_mode 1
		.amdhsa_fp16_overflow 0
		.amdhsa_tg_split 0
		.amdhsa_exception_fp_ieee_invalid_op 0
		.amdhsa_exception_fp_denorm_src 0
		.amdhsa_exception_fp_ieee_div_zero 0
		.amdhsa_exception_fp_ieee_overflow 0
		.amdhsa_exception_fp_ieee_underflow 0
		.amdhsa_exception_fp_ieee_inexact 0
		.amdhsa_exception_int_div_zero 0
	.end_amdhsa_kernel
	.section	.text._ZN2at6native19triu_indices_kernelIlEEvPT_lllll,"axG",@progbits,_ZN2at6native19triu_indices_kernelIlEEvPT_lllll,comdat
.Lfunc_end3:
	.size	_ZN2at6native19triu_indices_kernelIlEEvPT_lllll, .Lfunc_end3-_ZN2at6native19triu_indices_kernelIlEEvPT_lllll
                                        ; -- End function
	.section	.AMDGPU.csdata,"",@progbits
; Kernel info:
; codeLenInByte = 2612
; NumSgprs: 33
; NumVgprs: 18
; NumAgprs: 0
; TotalNumVgprs: 18
; ScratchSize: 0
; MemoryBound: 0
; FloatMode: 240
; IeeeMode: 1
; LDSByteSize: 0 bytes/workgroup (compile time only)
; SGPRBlocks: 4
; VGPRBlocks: 2
; NumSGPRsForWavesPerEU: 33
; NumVGPRsForWavesPerEU: 18
; AccumOffset: 20
; Occupancy: 8
; WaveLimiterHint : 0
; COMPUTE_PGM_RSRC2:SCRATCH_EN: 0
; COMPUTE_PGM_RSRC2:USER_SGPR: 6
; COMPUTE_PGM_RSRC2:TRAP_HANDLER: 0
; COMPUTE_PGM_RSRC2:TGID_X_EN: 1
; COMPUTE_PGM_RSRC2:TGID_Y_EN: 0
; COMPUTE_PGM_RSRC2:TGID_Z_EN: 0
; COMPUTE_PGM_RSRC2:TIDIG_COMP_CNT: 0
; COMPUTE_PGM_RSRC3_GFX90A:ACCUM_OFFSET: 4
; COMPUTE_PGM_RSRC3_GFX90A:TG_SPLIT: 0
	.text
	.p2alignl 6, 3212836864
	.fill 256, 4, 3212836864
	.type	__hip_cuid_25f492f6540f131d,@object ; @__hip_cuid_25f492f6540f131d
	.section	.bss,"aw",@nobits
	.globl	__hip_cuid_25f492f6540f131d
__hip_cuid_25f492f6540f131d:
	.byte	0                               ; 0x0
	.size	__hip_cuid_25f492f6540f131d, 1

	.ident	"AMD clang version 19.0.0git (https://github.com/RadeonOpenCompute/llvm-project roc-6.4.0 25133 c7fe45cf4b819c5991fe208aaa96edf142730f1d)"
	.section	".note.GNU-stack","",@progbits
	.addrsig
	.addrsig_sym __hip_cuid_25f492f6540f131d
	.amdgpu_metadata
---
amdhsa.kernels:
  - .agpr_count:     0
    .args:
      - .address_space:  global
        .offset:         0
        .size:           8
        .value_kind:     global_buffer
      - .offset:         8
        .size:           8
        .value_kind:     by_value
      - .offset:         16
        .size:           8
        .value_kind:     by_value
      - .offset:         24
        .size:           8
        .value_kind:     by_value
      - .offset:         32
        .size:           8
        .value_kind:     by_value
      - .offset:         40
        .size:           8
        .value_kind:     by_value
      - .offset:         48
        .size:           4
        .value_kind:     hidden_block_count_x
      - .offset:         52
        .size:           4
        .value_kind:     hidden_block_count_y
      - .offset:         56
        .size:           4
        .value_kind:     hidden_block_count_z
      - .offset:         60
        .size:           2
        .value_kind:     hidden_group_size_x
      - .offset:         62
        .size:           2
        .value_kind:     hidden_group_size_y
      - .offset:         64
        .size:           2
        .value_kind:     hidden_group_size_z
      - .offset:         66
        .size:           2
        .value_kind:     hidden_remainder_x
      - .offset:         68
        .size:           2
        .value_kind:     hidden_remainder_y
      - .offset:         70
        .size:           2
        .value_kind:     hidden_remainder_z
      - .offset:         88
        .size:           8
        .value_kind:     hidden_global_offset_x
      - .offset:         96
        .size:           8
        .value_kind:     hidden_global_offset_y
      - .offset:         104
        .size:           8
        .value_kind:     hidden_global_offset_z
      - .offset:         112
        .size:           2
        .value_kind:     hidden_grid_dims
    .group_segment_fixed_size: 0
    .kernarg_segment_align: 8
    .kernarg_segment_size: 304
    .language:       OpenCL C
    .language_version:
      - 2
      - 0
    .max_flat_workgroup_size: 512
    .name:           _ZN2at6native19tril_indices_kernelIiEEvPT_lllll
    .private_segment_fixed_size: 0
    .sgpr_count:     24
    .sgpr_spill_count: 0
    .symbol:         _ZN2at6native19tril_indices_kernelIiEEvPT_lllll.kd
    .uniform_work_group_size: 1
    .uses_dynamic_stack: false
    .vgpr_count:     16
    .vgpr_spill_count: 0
    .wavefront_size: 64
  - .agpr_count:     0
    .args:
      - .address_space:  global
        .offset:         0
        .size:           8
        .value_kind:     global_buffer
      - .offset:         8
        .size:           8
        .value_kind:     by_value
      - .offset:         16
        .size:           8
        .value_kind:     by_value
      - .offset:         24
        .size:           8
        .value_kind:     by_value
      - .offset:         32
        .size:           8
        .value_kind:     by_value
      - .offset:         40
        .size:           8
        .value_kind:     by_value
      - .offset:         48
        .size:           4
        .value_kind:     hidden_block_count_x
      - .offset:         52
        .size:           4
        .value_kind:     hidden_block_count_y
      - .offset:         56
        .size:           4
        .value_kind:     hidden_block_count_z
      - .offset:         60
        .size:           2
        .value_kind:     hidden_group_size_x
      - .offset:         62
        .size:           2
        .value_kind:     hidden_group_size_y
      - .offset:         64
        .size:           2
        .value_kind:     hidden_group_size_z
      - .offset:         66
        .size:           2
        .value_kind:     hidden_remainder_x
      - .offset:         68
        .size:           2
        .value_kind:     hidden_remainder_y
      - .offset:         70
        .size:           2
        .value_kind:     hidden_remainder_z
      - .offset:         88
        .size:           8
        .value_kind:     hidden_global_offset_x
      - .offset:         96
        .size:           8
        .value_kind:     hidden_global_offset_y
      - .offset:         104
        .size:           8
        .value_kind:     hidden_global_offset_z
      - .offset:         112
        .size:           2
        .value_kind:     hidden_grid_dims
    .group_segment_fixed_size: 0
    .kernarg_segment_align: 8
    .kernarg_segment_size: 304
    .language:       OpenCL C
    .language_version:
      - 2
      - 0
    .max_flat_workgroup_size: 512
    .name:           _ZN2at6native19tril_indices_kernelIlEEvPT_lllll
    .private_segment_fixed_size: 0
    .sgpr_count:     24
    .sgpr_spill_count: 0
    .symbol:         _ZN2at6native19tril_indices_kernelIlEEvPT_lllll.kd
    .uniform_work_group_size: 1
    .uses_dynamic_stack: false
    .vgpr_count:     18
    .vgpr_spill_count: 0
    .wavefront_size: 64
  - .agpr_count:     0
    .args:
      - .address_space:  global
        .offset:         0
        .size:           8
        .value_kind:     global_buffer
      - .offset:         8
        .size:           8
        .value_kind:     by_value
      - .offset:         16
        .size:           8
        .value_kind:     by_value
      - .offset:         24
        .size:           8
        .value_kind:     by_value
      - .offset:         32
        .size:           8
        .value_kind:     by_value
      - .offset:         40
        .size:           8
        .value_kind:     by_value
      - .offset:         48
        .size:           4
        .value_kind:     hidden_block_count_x
      - .offset:         52
        .size:           4
        .value_kind:     hidden_block_count_y
      - .offset:         56
        .size:           4
        .value_kind:     hidden_block_count_z
      - .offset:         60
        .size:           2
        .value_kind:     hidden_group_size_x
      - .offset:         62
        .size:           2
        .value_kind:     hidden_group_size_y
      - .offset:         64
        .size:           2
        .value_kind:     hidden_group_size_z
      - .offset:         66
        .size:           2
        .value_kind:     hidden_remainder_x
      - .offset:         68
        .size:           2
        .value_kind:     hidden_remainder_y
      - .offset:         70
        .size:           2
        .value_kind:     hidden_remainder_z
      - .offset:         88
        .size:           8
        .value_kind:     hidden_global_offset_x
      - .offset:         96
        .size:           8
        .value_kind:     hidden_global_offset_y
      - .offset:         104
        .size:           8
        .value_kind:     hidden_global_offset_z
      - .offset:         112
        .size:           2
        .value_kind:     hidden_grid_dims
    .group_segment_fixed_size: 0
    .kernarg_segment_align: 8
    .kernarg_segment_size: 304
    .language:       OpenCL C
    .language_version:
      - 2
      - 0
    .max_flat_workgroup_size: 1024
    .name:           _ZN2at6native19triu_indices_kernelIiEEvPT_lllll
    .private_segment_fixed_size: 0
    .sgpr_count:     32
    .sgpr_spill_count: 0
    .symbol:         _ZN2at6native19triu_indices_kernelIiEEvPT_lllll.kd
    .uniform_work_group_size: 1
    .uses_dynamic_stack: false
    .vgpr_count:     18
    .vgpr_spill_count: 0
    .wavefront_size: 64
  - .agpr_count:     0
    .args:
      - .address_space:  global
        .offset:         0
        .size:           8
        .value_kind:     global_buffer
      - .offset:         8
        .size:           8
        .value_kind:     by_value
      - .offset:         16
        .size:           8
        .value_kind:     by_value
      - .offset:         24
        .size:           8
        .value_kind:     by_value
      - .offset:         32
        .size:           8
        .value_kind:     by_value
      - .offset:         40
        .size:           8
        .value_kind:     by_value
      - .offset:         48
        .size:           4
        .value_kind:     hidden_block_count_x
      - .offset:         52
        .size:           4
        .value_kind:     hidden_block_count_y
      - .offset:         56
        .size:           4
        .value_kind:     hidden_block_count_z
      - .offset:         60
        .size:           2
        .value_kind:     hidden_group_size_x
      - .offset:         62
        .size:           2
        .value_kind:     hidden_group_size_y
      - .offset:         64
        .size:           2
        .value_kind:     hidden_group_size_z
      - .offset:         66
        .size:           2
        .value_kind:     hidden_remainder_x
      - .offset:         68
        .size:           2
        .value_kind:     hidden_remainder_y
      - .offset:         70
        .size:           2
        .value_kind:     hidden_remainder_z
      - .offset:         88
        .size:           8
        .value_kind:     hidden_global_offset_x
      - .offset:         96
        .size:           8
        .value_kind:     hidden_global_offset_y
      - .offset:         104
        .size:           8
        .value_kind:     hidden_global_offset_z
      - .offset:         112
        .size:           2
        .value_kind:     hidden_grid_dims
    .group_segment_fixed_size: 0
    .kernarg_segment_align: 8
    .kernarg_segment_size: 304
    .language:       OpenCL C
    .language_version:
      - 2
      - 0
    .max_flat_workgroup_size: 1024
    .name:           _ZN2at6native19triu_indices_kernelIlEEvPT_lllll
    .private_segment_fixed_size: 0
    .sgpr_count:     33
    .sgpr_spill_count: 0
    .symbol:         _ZN2at6native19triu_indices_kernelIlEEvPT_lllll.kd
    .uniform_work_group_size: 1
    .uses_dynamic_stack: false
    .vgpr_count:     18
    .vgpr_spill_count: 0
    .wavefront_size: 64
amdhsa.target:   amdgcn-amd-amdhsa--gfx90a
amdhsa.version:
  - 1
  - 2
...

	.end_amdgpu_metadata
